;; amdgpu-corpus repo=ROCm/rocFFT kind=compiled arch=gfx906 opt=O3
	.text
	.amdgcn_target "amdgcn-amd-amdhsa--gfx906"
	.amdhsa_code_object_version 6
	.protected	fft_rtc_fwd_len1365_factors_13_7_5_3_wgs_182_tpt_91_halfLds_sp_ip_CI_unitstride_sbrr_dirReg ; -- Begin function fft_rtc_fwd_len1365_factors_13_7_5_3_wgs_182_tpt_91_halfLds_sp_ip_CI_unitstride_sbrr_dirReg
	.globl	fft_rtc_fwd_len1365_factors_13_7_5_3_wgs_182_tpt_91_halfLds_sp_ip_CI_unitstride_sbrr_dirReg
	.p2align	8
	.type	fft_rtc_fwd_len1365_factors_13_7_5_3_wgs_182_tpt_91_halfLds_sp_ip_CI_unitstride_sbrr_dirReg,@function
fft_rtc_fwd_len1365_factors_13_7_5_3_wgs_182_tpt_91_halfLds_sp_ip_CI_unitstride_sbrr_dirReg: ; @fft_rtc_fwd_len1365_factors_13_7_5_3_wgs_182_tpt_91_halfLds_sp_ip_CI_unitstride_sbrr_dirReg
; %bb.0:
	s_load_dwordx2 s[12:13], s[4:5], 0x50
	s_load_dwordx4 s[8:11], s[4:5], 0x0
	s_load_dwordx2 s[2:3], s[4:5], 0x18
	v_mul_u32_u24_e32 v1, 0x2d1, v0
	v_lshrrev_b32_e32 v58, 16, v1
	v_mov_b32_e32 v3, 0
	s_waitcnt lgkmcnt(0)
	v_cmp_lt_u64_e64 s[0:1], s[10:11], 2
	v_mov_b32_e32 v1, 0
	v_lshl_add_u32 v5, s6, 1, v58
	v_mov_b32_e32 v6, v3
	s_and_b64 vcc, exec, s[0:1]
	v_mov_b32_e32 v2, 0
	s_cbranch_vccnz .LBB0_8
; %bb.1:
	s_load_dwordx2 s[0:1], s[4:5], 0x10
	s_add_u32 s6, s2, 8
	s_addc_u32 s7, s3, 0
	v_mov_b32_e32 v1, 0
	v_mov_b32_e32 v2, 0
	s_waitcnt lgkmcnt(0)
	s_add_u32 s14, s0, 8
	s_addc_u32 s15, s1, 0
	s_mov_b64 s[16:17], 1
.LBB0_2:                                ; =>This Inner Loop Header: Depth=1
	s_load_dwordx2 s[18:19], s[14:15], 0x0
                                        ; implicit-def: $vgpr7_vgpr8
	s_waitcnt lgkmcnt(0)
	v_or_b32_e32 v4, s19, v6
	v_cmp_ne_u64_e32 vcc, 0, v[3:4]
	s_and_saveexec_b64 s[0:1], vcc
	s_xor_b64 s[20:21], exec, s[0:1]
	s_cbranch_execz .LBB0_4
; %bb.3:                                ;   in Loop: Header=BB0_2 Depth=1
	v_cvt_f32_u32_e32 v4, s18
	v_cvt_f32_u32_e32 v7, s19
	s_sub_u32 s0, 0, s18
	s_subb_u32 s1, 0, s19
	v_mac_f32_e32 v4, 0x4f800000, v7
	v_rcp_f32_e32 v4, v4
	v_mul_f32_e32 v4, 0x5f7ffffc, v4
	v_mul_f32_e32 v7, 0x2f800000, v4
	v_trunc_f32_e32 v7, v7
	v_mac_f32_e32 v4, 0xcf800000, v7
	v_cvt_u32_f32_e32 v7, v7
	v_cvt_u32_f32_e32 v4, v4
	v_mul_lo_u32 v8, s0, v7
	v_mul_hi_u32 v9, s0, v4
	v_mul_lo_u32 v11, s1, v4
	v_mul_lo_u32 v10, s0, v4
	v_add_u32_e32 v8, v9, v8
	v_add_u32_e32 v8, v8, v11
	v_mul_hi_u32 v9, v4, v10
	v_mul_lo_u32 v11, v4, v8
	v_mul_hi_u32 v13, v4, v8
	v_mul_hi_u32 v12, v7, v10
	v_mul_lo_u32 v10, v7, v10
	v_mul_hi_u32 v14, v7, v8
	v_add_co_u32_e32 v9, vcc, v9, v11
	v_addc_co_u32_e32 v11, vcc, 0, v13, vcc
	v_mul_lo_u32 v8, v7, v8
	v_add_co_u32_e32 v9, vcc, v9, v10
	v_addc_co_u32_e32 v9, vcc, v11, v12, vcc
	v_addc_co_u32_e32 v10, vcc, 0, v14, vcc
	v_add_co_u32_e32 v8, vcc, v9, v8
	v_addc_co_u32_e32 v9, vcc, 0, v10, vcc
	v_add_co_u32_e32 v4, vcc, v4, v8
	v_addc_co_u32_e32 v7, vcc, v7, v9, vcc
	v_mul_lo_u32 v8, s0, v7
	v_mul_hi_u32 v9, s0, v4
	v_mul_lo_u32 v10, s1, v4
	v_mul_lo_u32 v11, s0, v4
	v_add_u32_e32 v8, v9, v8
	v_add_u32_e32 v8, v8, v10
	v_mul_lo_u32 v12, v4, v8
	v_mul_hi_u32 v13, v4, v11
	v_mul_hi_u32 v14, v4, v8
	;; [unrolled: 1-line block ×3, first 2 shown]
	v_mul_lo_u32 v11, v7, v11
	v_mul_hi_u32 v9, v7, v8
	v_add_co_u32_e32 v12, vcc, v13, v12
	v_addc_co_u32_e32 v13, vcc, 0, v14, vcc
	v_mul_lo_u32 v8, v7, v8
	v_add_co_u32_e32 v11, vcc, v12, v11
	v_addc_co_u32_e32 v10, vcc, v13, v10, vcc
	v_addc_co_u32_e32 v9, vcc, 0, v9, vcc
	v_add_co_u32_e32 v8, vcc, v10, v8
	v_addc_co_u32_e32 v9, vcc, 0, v9, vcc
	v_add_co_u32_e32 v4, vcc, v4, v8
	v_addc_co_u32_e32 v9, vcc, v7, v9, vcc
	v_mad_u64_u32 v[7:8], s[0:1], v5, v9, 0
	v_mul_hi_u32 v10, v5, v4
	v_add_co_u32_e32 v11, vcc, v10, v7
	v_addc_co_u32_e32 v12, vcc, 0, v8, vcc
	v_mad_u64_u32 v[7:8], s[0:1], v6, v4, 0
	v_mad_u64_u32 v[9:10], s[0:1], v6, v9, 0
	v_add_co_u32_e32 v4, vcc, v11, v7
	v_addc_co_u32_e32 v4, vcc, v12, v8, vcc
	v_addc_co_u32_e32 v7, vcc, 0, v10, vcc
	v_add_co_u32_e32 v4, vcc, v4, v9
	v_addc_co_u32_e32 v9, vcc, 0, v7, vcc
	v_mul_lo_u32 v10, s19, v4
	v_mul_lo_u32 v11, s18, v9
	v_mad_u64_u32 v[7:8], s[0:1], s18, v4, 0
	v_add3_u32 v8, v8, v11, v10
	v_sub_u32_e32 v10, v6, v8
	v_mov_b32_e32 v11, s19
	v_sub_co_u32_e32 v7, vcc, v5, v7
	v_subb_co_u32_e64 v10, s[0:1], v10, v11, vcc
	v_subrev_co_u32_e64 v11, s[0:1], s18, v7
	v_subbrev_co_u32_e64 v10, s[0:1], 0, v10, s[0:1]
	v_cmp_le_u32_e64 s[0:1], s19, v10
	v_cndmask_b32_e64 v12, 0, -1, s[0:1]
	v_cmp_le_u32_e64 s[0:1], s18, v11
	v_cndmask_b32_e64 v11, 0, -1, s[0:1]
	v_cmp_eq_u32_e64 s[0:1], s19, v10
	v_cndmask_b32_e64 v10, v12, v11, s[0:1]
	v_add_co_u32_e64 v11, s[0:1], 2, v4
	v_addc_co_u32_e64 v12, s[0:1], 0, v9, s[0:1]
	v_add_co_u32_e64 v13, s[0:1], 1, v4
	v_addc_co_u32_e64 v14, s[0:1], 0, v9, s[0:1]
	v_subb_co_u32_e32 v8, vcc, v6, v8, vcc
	v_cmp_ne_u32_e64 s[0:1], 0, v10
	v_cmp_le_u32_e32 vcc, s19, v8
	v_cndmask_b32_e64 v10, v14, v12, s[0:1]
	v_cndmask_b32_e64 v12, 0, -1, vcc
	v_cmp_le_u32_e32 vcc, s18, v7
	v_cndmask_b32_e64 v7, 0, -1, vcc
	v_cmp_eq_u32_e32 vcc, s19, v8
	v_cndmask_b32_e32 v7, v12, v7, vcc
	v_cmp_ne_u32_e32 vcc, 0, v7
	v_cndmask_b32_e64 v7, v13, v11, s[0:1]
	v_cndmask_b32_e32 v8, v9, v10, vcc
	v_cndmask_b32_e32 v7, v4, v7, vcc
.LBB0_4:                                ;   in Loop: Header=BB0_2 Depth=1
	s_andn2_saveexec_b64 s[0:1], s[20:21]
	s_cbranch_execz .LBB0_6
; %bb.5:                                ;   in Loop: Header=BB0_2 Depth=1
	v_cvt_f32_u32_e32 v4, s18
	s_sub_i32 s20, 0, s18
	v_rcp_iflag_f32_e32 v4, v4
	v_mul_f32_e32 v4, 0x4f7ffffe, v4
	v_cvt_u32_f32_e32 v4, v4
	v_mul_lo_u32 v7, s20, v4
	v_mul_hi_u32 v7, v4, v7
	v_add_u32_e32 v4, v4, v7
	v_mul_hi_u32 v4, v5, v4
	v_mul_lo_u32 v7, v4, s18
	v_add_u32_e32 v8, 1, v4
	v_sub_u32_e32 v7, v5, v7
	v_subrev_u32_e32 v9, s18, v7
	v_cmp_le_u32_e32 vcc, s18, v7
	v_cndmask_b32_e32 v7, v7, v9, vcc
	v_cndmask_b32_e32 v4, v4, v8, vcc
	v_add_u32_e32 v8, 1, v4
	v_cmp_le_u32_e32 vcc, s18, v7
	v_cndmask_b32_e32 v7, v4, v8, vcc
	v_mov_b32_e32 v8, v3
.LBB0_6:                                ;   in Loop: Header=BB0_2 Depth=1
	s_or_b64 exec, exec, s[0:1]
	v_mul_lo_u32 v4, v8, s18
	v_mul_lo_u32 v11, v7, s19
	v_mad_u64_u32 v[9:10], s[0:1], v7, s18, 0
	s_load_dwordx2 s[0:1], s[6:7], 0x0
	s_add_u32 s16, s16, 1
	v_add3_u32 v4, v10, v11, v4
	v_sub_co_u32_e32 v5, vcc, v5, v9
	v_subb_co_u32_e32 v4, vcc, v6, v4, vcc
	s_waitcnt lgkmcnt(0)
	v_mul_lo_u32 v4, s0, v4
	v_mul_lo_u32 v6, s1, v5
	v_mad_u64_u32 v[1:2], s[0:1], s0, v5, v[1:2]
	s_addc_u32 s17, s17, 0
	s_add_u32 s6, s6, 8
	v_add3_u32 v2, v6, v2, v4
	v_mov_b32_e32 v4, s10
	v_mov_b32_e32 v5, s11
	s_addc_u32 s7, s7, 0
	v_cmp_ge_u64_e32 vcc, s[16:17], v[4:5]
	s_add_u32 s14, s14, 8
	s_addc_u32 s15, s15, 0
	s_cbranch_vccnz .LBB0_9
; %bb.7:                                ;   in Loop: Header=BB0_2 Depth=1
	v_mov_b32_e32 v5, v7
	v_mov_b32_e32 v6, v8
	s_branch .LBB0_2
.LBB0_8:
	v_mov_b32_e32 v8, v6
	v_mov_b32_e32 v7, v5
.LBB0_9:
	s_lshl_b64 s[0:1], s[10:11], 3
	s_add_u32 s0, s2, s0
	s_addc_u32 s1, s3, s1
	s_load_dwordx2 s[2:3], s[0:1], 0x0
	s_load_dwordx2 s[6:7], s[4:5], 0x20
                                        ; implicit-def: $vgpr45
                                        ; implicit-def: $vgpr53
                                        ; implicit-def: $vgpr47
                                        ; implicit-def: $vgpr43
                                        ; implicit-def: $vgpr39
                                        ; implicit-def: $vgpr35
                                        ; implicit-def: $vgpr31
                                        ; implicit-def: $vgpr33
                                        ; implicit-def: $vgpr37
                                        ; implicit-def: $vgpr41
                                        ; implicit-def: $vgpr51
                                        ; implicit-def: $vgpr9
                                        ; implicit-def: $vgpr11
                                        ; implicit-def: $vgpr13
                                        ; implicit-def: $vgpr15
                                        ; implicit-def: $vgpr17
                                        ; implicit-def: $vgpr29
                                        ; implicit-def: $vgpr27
                                        ; implicit-def: $vgpr25
                                        ; implicit-def: $vgpr23
                                        ; implicit-def: $vgpr21
                                        ; implicit-def: $vgpr19
                                        ; implicit-def: $vgpr55
                                        ; implicit-def: $vgpr49
	s_waitcnt lgkmcnt(0)
	v_mad_u64_u32 v[1:2], s[0:1], s2, v7, v[1:2]
	s_mov_b32 s0, 0x2d02d03
	v_mul_lo_u32 v3, s2, v8
	v_mul_lo_u32 v4, s3, v7
	v_mul_hi_u32 v5, v0, s0
	v_cmp_gt_u64_e64 s[0:1], s[6:7], v[7:8]
                                        ; implicit-def: $vgpr7
	v_add3_u32 v2, v4, v2, v3
	v_mul_u32_u24_e32 v3, 0x5b, v5
	v_sub_u32_e32 v0, v0, v3
	v_lshlrev_b64 v[2:3], 3, v[1:2]
	v_mov_b32_e32 v5, 0
	v_mov_b32_e32 v1, 0
	s_and_saveexec_b64 s[2:3], s[0:1]
	s_cbranch_execz .LBB0_13
; %bb.10:
	v_mov_b32_e32 v1, 0
	v_mov_b32_e32 v4, s13
	v_add_co_u32_e32 v6, vcc, s12, v2
	v_addc_co_u32_e32 v7, vcc, v4, v3, vcc
	v_lshlrev_b64 v[4:5], 3, v[0:1]
                                        ; implicit-def: $vgpr18
                                        ; implicit-def: $vgpr20
                                        ; implicit-def: $vgpr22
                                        ; implicit-def: $vgpr24
                                        ; implicit-def: $vgpr26
                                        ; implicit-def: $vgpr28
                                        ; implicit-def: $vgpr16
                                        ; implicit-def: $vgpr14
                                        ; implicit-def: $vgpr12
                                        ; implicit-def: $vgpr10
                                        ; implicit-def: $vgpr8
	v_add_co_u32_e32 v56, vcc, v6, v4
	v_addc_co_u32_e32 v57, vcc, v7, v5, vcc
	v_add_co_u32_e32 v4, vcc, 0x1000, v56
	v_addc_co_u32_e32 v5, vcc, 0, v57, vcc
	v_add_co_u32_e32 v6, vcc, 0x2000, v56
	global_load_dwordx2 v[38:39], v[56:57], off offset:3360
	global_load_dwordx2 v[34:35], v[4:5], off offset:104
	;; [unrolled: 1-line block ×4, first 2 shown]
	v_addc_co_u32_e32 v7, vcc, 0, v57, vcc
	global_load_dwordx2 v[36:37], v[4:5], off offset:2624
	global_load_dwordx2 v[40:41], v[4:5], off offset:3464
	;; [unrolled: 1-line block ×5, first 2 shown]
	global_load_dwordx2 v[44:45], v[56:57], off
	global_load_dwordx2 v[52:53], v[56:57], off offset:840
	global_load_dwordx2 v[46:47], v[56:57], off offset:1680
	;; [unrolled: 1-line block ×3, first 2 shown]
	v_cmp_gt_u32_e32 vcc, 14, v0
	v_mov_b32_e32 v5, v1
                                        ; implicit-def: $vgpr6
	s_and_saveexec_b64 s[4:5], vcc
	s_cbranch_execz .LBB0_12
; %bb.11:
	v_add_co_u32_e32 v59, vcc, 0x1000, v56
	v_addc_co_u32_e32 v60, vcc, 0, v57, vcc
	global_load_dwordx2 v[4:5], v[56:57], off offset:728
	global_load_dwordx2 v[6:7], v[56:57], off offset:1568
	;; [unrolled: 1-line block ×8, first 2 shown]
	v_add_co_u32_e32 v56, vcc, 0x2000, v56
	v_addc_co_u32_e32 v57, vcc, 0, v57, vcc
	global_load_dwordx2 v[20:21], v[59:60], off offset:3352
	global_load_dwordx2 v[22:23], v[56:57], off offset:96
	;; [unrolled: 1-line block ×5, first 2 shown]
	s_waitcnt vmcnt(12)
	v_mov_b32_e32 v1, v4
.LBB0_12:
	s_or_b64 exec, exec, s[4:5]
.LBB0_13:
	s_or_b64 exec, exec, s[2:3]
	v_and_b32_e32 v4, 1, v58
	v_mov_b32_e32 v56, 0x555
	v_cmp_eq_u32_e32 vcc, 1, v4
	v_cndmask_b32_e32 v4, 0, v56, vcc
	s_waitcnt vmcnt(2)
	v_add_f32_e32 v56, v44, v52
	s_waitcnt vmcnt(1)
	v_add_f32_e32 v56, v56, v46
	s_waitcnt vmcnt(0)
	v_add_f32_e32 v56, v56, v42
	v_add_f32_e32 v56, v56, v38
	v_add_f32_e32 v56, v56, v34
	;; [unrolled: 1-line block ×10, first 2 shown]
	v_mul_f32_e32 v58, 0x3f62ad3f, v56
	v_mul_f32_e32 v60, 0x3f116cb1, v56
	;; [unrolled: 1-line block ×6, first 2 shown]
	v_sub_f32_e32 v57, v53, v55
	v_mov_b32_e32 v59, v58
	v_mov_b32_e32 v61, v60
	;; [unrolled: 1-line block ×6, first 2 shown]
	v_fmac_f32_e32 v59, 0x3eedf032, v57
	v_fmac_f32_e32 v58, 0xbeedf032, v57
	;; [unrolled: 1-line block ×12, first 2 shown]
	v_add_f32_e32 v59, v59, v44
	v_add_f32_e32 v58, v58, v44
	;; [unrolled: 1-line block ×13, first 2 shown]
	v_sub_f32_e32 v57, v47, v51
	v_mul_f32_e32 v70, 0x3f116cb1, v56
	v_mov_b32_e32 v71, v70
	v_fmac_f32_e32 v70, 0xbf52af12, v57
	v_fmac_f32_e32 v71, 0x3f52af12, v57
	v_add_f32_e32 v58, v70, v58
	v_mul_f32_e32 v70, 0xbeb58ec6, v56
	v_add_f32_e32 v59, v71, v59
	v_mov_b32_e32 v71, v70
	v_fmac_f32_e32 v70, 0xbf6f5d39, v57
	v_fmac_f32_e32 v71, 0x3f6f5d39, v57
	v_add_f32_e32 v60, v70, v60
	v_mul_f32_e32 v70, 0xbf788fa5, v56
	v_add_f32_e32 v61, v71, v61
	v_mov_b32_e32 v71, v70
	v_fmac_f32_e32 v70, 0xbe750f2a, v57
	v_fmac_f32_e32 v71, 0x3e750f2a, v57
	v_add_f32_e32 v62, v70, v62
	v_mul_f32_e32 v70, 0xbf3f9e67, v56
	v_add_f32_e32 v63, v71, v63
	v_mov_b32_e32 v71, v70
	v_fmac_f32_e32 v70, 0x3f29c268, v57
	v_fmac_f32_e32 v71, 0xbf29c268, v57
	v_add_f32_e32 v65, v70, v65
	v_mul_f32_e32 v70, 0x3df6dbef, v56
	v_add_f32_e32 v66, v71, v66
	v_mov_b32_e32 v71, v70
	v_fmac_f32_e32 v70, 0x3f7e222b, v57
	v_mul_f32_e32 v56, 0x3f62ad3f, v56
	v_add_f32_e32 v67, v70, v67
	v_mov_b32_e32 v70, v56
	v_fmac_f32_e32 v56, 0x3eedf032, v57
	v_fmac_f32_e32 v70, 0xbeedf032, v57
	v_add_f32_e32 v44, v56, v44
	v_add_f32_e32 v56, v48, v42
	v_fmac_f32_e32 v71, 0xbf7e222b, v57
	v_add_f32_e32 v69, v70, v69
	v_sub_f32_e32 v57, v43, v49
	v_mul_f32_e32 v70, 0x3df6dbef, v56
	v_add_f32_e32 v68, v71, v68
	v_mov_b32_e32 v71, v70
	v_fmac_f32_e32 v70, 0xbf7e222b, v57
	v_fmac_f32_e32 v71, 0x3f7e222b, v57
	v_add_f32_e32 v58, v58, v70
	v_mul_f32_e32 v70, 0xbf788fa5, v56
	v_add_f32_e32 v59, v59, v71
	v_mov_b32_e32 v71, v70
	v_fmac_f32_e32 v70, 0xbe750f2a, v57
	v_fmac_f32_e32 v71, 0x3e750f2a, v57
	v_add_f32_e32 v60, v60, v70
	v_mul_f32_e32 v70, 0xbeb58ec6, v56
	v_add_f32_e32 v61, v61, v71
	v_mov_b32_e32 v71, v70
	v_fmac_f32_e32 v70, 0x3f6f5d39, v57
	v_fmac_f32_e32 v71, 0xbf6f5d39, v57
	v_add_f32_e32 v62, v62, v70
	v_mul_f32_e32 v70, 0x3f62ad3f, v56
	v_add_f32_e32 v63, v63, v71
	v_mov_b32_e32 v71, v70
	v_fmac_f32_e32 v70, 0x3eedf032, v57
	v_fmac_f32_e32 v71, 0xbeedf032, v57
	v_add_f32_e32 v65, v65, v70
	v_mul_f32_e32 v70, 0x3f116cb1, v56
	v_add_f32_e32 v66, v66, v71
	v_mov_b32_e32 v71, v70
	v_fmac_f32_e32 v70, 0xbf52af12, v57
	v_mul_f32_e32 v56, 0xbf3f9e67, v56
	v_add_f32_e32 v67, v67, v70
	v_mov_b32_e32 v70, v56
	v_fmac_f32_e32 v56, 0xbf29c268, v57
	v_fmac_f32_e32 v70, 0x3f29c268, v57
	v_add_f32_e32 v44, v44, v56
	v_add_f32_e32 v56, v38, v40
	v_fmac_f32_e32 v71, 0x3f52af12, v57
	v_add_f32_e32 v69, v69, v70
	v_sub_f32_e32 v57, v39, v41
	v_mul_f32_e32 v70, 0xbeb58ec6, v56
	v_add_f32_e32 v68, v68, v71
	;; [unrolled: 38-line block ×3, first 2 shown]
	v_mov_b32_e32 v71, v70
	v_fmac_f32_e32 v70, 0xbf29c268, v57
	v_fmac_f32_e32 v71, 0x3f29c268, v57
	v_add_f32_e32 v58, v70, v58
	v_mul_f32_e32 v70, 0x3df6dbef, v56
	v_add_f32_e32 v59, v71, v59
	v_mov_b32_e32 v71, v70
	v_fmac_f32_e32 v70, 0x3f7e222b, v57
	v_fmac_f32_e32 v71, 0xbf7e222b, v57
	v_add_f32_e32 v60, v70, v60
	v_mul_f32_e32 v70, 0x3f116cb1, v56
	v_add_f32_e32 v61, v71, v61
	;; [unrolled: 6-line block ×4, first 2 shown]
	v_mov_b32_e32 v71, v62
	v_fmac_f32_e32 v62, 0x3eedf032, v57
	v_mul_f32_e32 v56, 0xbeb58ec6, v56
	v_add_f32_e32 v67, v62, v67
	v_mov_b32_e32 v62, v56
	v_fmac_f32_e32 v71, 0xbeedf032, v57
	v_fmac_f32_e32 v62, 0x3f6f5d39, v57
	;; [unrolled: 1-line block ×3, first 2 shown]
	v_add_f32_e32 v57, v30, v32
	v_add_f32_e32 v56, v56, v44
	v_sub_f32_e32 v75, v31, v33
	v_mul_f32_e32 v44, 0xbf788fa5, v57
	v_add_f32_e32 v73, v62, v69
	v_mov_b32_e32 v62, v44
	v_fmac_f32_e32 v44, 0xbe750f2a, v75
	v_fmac_f32_e32 v62, 0x3e750f2a, v75
	v_add_f32_e32 v44, v44, v58
	v_mul_f32_e32 v58, 0x3f62ad3f, v57
	v_add_f32_e32 v74, v62, v59
	v_mov_b32_e32 v59, v58
	v_fmac_f32_e32 v58, 0x3eedf032, v75
	v_fmac_f32_e32 v59, 0xbeedf032, v75
	v_add_f32_e32 v62, v58, v60
	v_mul_f32_e32 v58, 0xbf3f9e67, v57
	v_add_f32_e32 v68, v71, v68
	v_add_f32_e32 v71, v59, v61
	v_mov_b32_e32 v59, v58
	v_fmac_f32_e32 v59, 0x3f29c268, v75
	v_fmac_f32_e32 v58, 0xbf29c268, v75
	v_add_f32_e32 v72, v59, v63
	v_add_f32_e32 v63, v58, v70
	v_mul_f32_e32 v58, 0x3f116cb1, v57
	v_mov_b32_e32 v59, v58
	v_fmac_f32_e32 v58, 0x3f52af12, v75
	v_fmac_f32_e32 v59, 0xbf52af12, v75
	v_add_f32_e32 v65, v58, v65
	v_mul_f32_e32 v58, 0xbeb58ec6, v57
	v_add_f32_e32 v69, v59, v66
	v_mov_b32_e32 v59, v58
	v_fmac_f32_e32 v58, 0xbf6f5d39, v75
	v_mul_f32_e32 v57, 0x3df6dbef, v57
	v_fmac_f32_e32 v59, 0x3f6f5d39, v75
	v_add_f32_e32 v66, v58, v67
	v_mov_b32_e32 v58, v57
	v_fmac_f32_e32 v57, 0x3f7e222b, v75
	v_add_f32_e32 v82, v6, v28
	v_add_f32_e32 v70, v59, v68
	v_fmac_f32_e32 v58, 0xbf7e222b, v75
	v_add_f32_e32 v68, v57, v56
	v_sub_f32_e32 v56, v7, v29
	v_mul_f32_e32 v75, 0xbf788fa5, v82
	v_mov_b32_e32 v76, v75
	v_fmac_f32_e32 v75, 0xbe750f2a, v56
	s_mov_b32 s5, 0x3f62ad3f
	v_add_f32_e32 v67, v58, v73
	v_mul_f32_e32 v73, 0xbeedf032, v56
	v_mul_f32_e32 v77, 0xbf52af12, v56
	;; [unrolled: 1-line block ×5, first 2 shown]
	v_fmac_f32_e32 v76, 0x3e750f2a, v56
	v_add_f32_e32 v56, v1, v75
	v_sub_f32_e32 v75, v9, v27
	s_mov_b32 s3, 0x3f116cb1
	v_fma_f32 v57, v82, s5, -v73
	v_add_f32_e32 v88, v8, v26
	v_mul_f32_e32 v80, 0xbf52af12, v75
	v_add_f32_e32 v57, v1, v57
	v_fma_f32 v83, v88, s3, -v80
	s_mov_b32 s2, 0xbeb58ec6
	v_fma_f32 v58, v82, s3, -v77
	v_add_f32_e32 v57, v57, v83
	v_mul_f32_e32 v83, 0xbf6f5d39, v75
	s_mov_b32 s7, 0x3df6dbef
	v_add_f32_e32 v58, v1, v58
	v_fma_f32 v84, v88, s2, -v83
	s_mov_b32 s6, 0xbf788fa5
	v_fma_f32 v59, v82, s7, -v78
	v_add_f32_e32 v58, v58, v84
	v_mul_f32_e32 v84, 0xbe750f2a, v75
	v_add_f32_e32 v59, v1, v59
	v_fma_f32 v85, v88, s6, -v84
	s_mov_b32 s4, 0xbf3f9e67
	v_fma_f32 v60, v82, s2, -v79
	v_add_f32_e32 v59, v59, v85
	v_mul_f32_e32 v85, 0x3f29c268, v75
	v_add_f32_e32 v60, v1, v60
	v_fma_f32 v61, v82, s4, -v81
	v_fma_f32 v86, v88, s4, -v85
	v_mul_f32_e32 v87, 0x3f7e222b, v75
	v_add_f32_e32 v61, v1, v61
	v_add_f32_e32 v60, v60, v86
	v_fma_f32 v86, v88, s7, -v87
	v_add_f32_e32 v61, v61, v86
	v_mul_f32_e32 v86, 0x3f62ad3f, v88
	v_mov_b32_e32 v89, v86
	v_fmac_f32_e32 v89, 0xbeedf032, v75
	v_fmac_f32_e32 v86, 0x3eedf032, v75
	v_sub_f32_e32 v75, v11, v25
	v_add_f32_e32 v76, v1, v76
	v_add_f32_e32 v56, v56, v86
	;; [unrolled: 1-line block ×3, first 2 shown]
	v_mul_f32_e32 v86, 0xbf7e222b, v75
	v_add_f32_e32 v76, v76, v89
	v_fma_f32 v89, v94, s7, -v86
	v_add_f32_e32 v57, v57, v89
	v_mul_f32_e32 v89, 0xbe750f2a, v75
	v_fma_f32 v90, v94, s6, -v89
	v_add_f32_e32 v58, v58, v90
	v_mul_f32_e32 v90, 0x3f6f5d39, v75
	;; [unrolled: 3-line block ×3, first 2 shown]
	v_fma_f32 v92, v94, s5, -v91
	v_mul_f32_e32 v93, 0xbf52af12, v75
	v_add_f32_e32 v60, v60, v92
	v_fma_f32 v92, v94, s3, -v93
	v_add_f32_e32 v61, v61, v92
	v_mul_f32_e32 v92, 0xbf3f9e67, v94
	v_mov_b32_e32 v95, v92
	v_fmac_f32_e32 v95, 0x3f29c268, v75
	v_fmac_f32_e32 v92, 0xbf29c268, v75
	v_sub_f32_e32 v75, v13, v23
	v_add_f32_e32 v56, v56, v92
	v_add_f32_e32 v100, v12, v22
	v_mul_f32_e32 v92, 0xbf6f5d39, v75
	v_add_f32_e32 v76, v76, v95
	v_fma_f32 v95, v100, s2, -v92
	v_add_f32_e32 v57, v57, v95
	v_mul_f32_e32 v95, 0x3f29c268, v75
	v_fma_f32 v96, v100, s4, -v95
	v_add_f32_e32 v58, v58, v96
	v_mul_f32_e32 v96, 0x3eedf032, v75
	;; [unrolled: 3-line block ×3, first 2 shown]
	v_fma_f32 v98, v100, s7, -v97
	v_mul_f32_e32 v99, 0x3e750f2a, v75
	v_add_f32_e32 v60, v60, v98
	v_fma_f32 v98, v100, s6, -v99
	v_add_f32_e32 v61, v61, v98
	v_mul_f32_e32 v98, 0x3f116cb1, v100
	v_mov_b32_e32 v101, v98
	v_fmac_f32_e32 v101, 0xbf52af12, v75
	v_fmac_f32_e32 v98, 0x3f52af12, v75
	v_sub_f32_e32 v75, v15, v21
	v_add_f32_e32 v56, v56, v98
	v_add_f32_e32 v106, v14, v20
	v_mul_f32_e32 v98, 0xbf29c268, v75
	v_add_f32_e32 v76, v76, v101
	v_fma_f32 v101, v106, s4, -v98
	v_add_f32_e32 v57, v57, v101
	v_mul_f32_e32 v101, 0x3f7e222b, v75
	v_fma_f32 v102, v106, s7, -v101
	v_add_f32_e32 v58, v58, v102
	v_mul_f32_e32 v102, 0xbf52af12, v75
	;; [unrolled: 3-line block ×3, first 2 shown]
	v_fma_f32 v104, v106, s6, -v103
	v_mul_f32_e32 v105, 0x3eedf032, v75
	v_add_f32_e32 v60, v60, v104
	v_fma_f32 v104, v106, s5, -v105
	v_add_f32_e32 v61, v61, v104
	v_mul_f32_e32 v104, 0xbeb58ec6, v106
	v_mov_b32_e32 v107, v104
	v_fmac_f32_e32 v104, 0xbf6f5d39, v75
	v_sub_f32_e32 v112, v17, v19
	v_fmac_f32_e32 v107, 0x3f6f5d39, v75
	v_add_f32_e32 v75, v56, v104
	v_add_f32_e32 v108, v16, v18
	v_mul_f32_e32 v104, 0xbe750f2a, v112
	v_add_f32_e32 v76, v76, v107
	v_fma_f32 v56, v108, s6, -v104
	v_mul_f32_e32 v107, 0x3eedf032, v112
	v_add_f32_e32 v56, v57, v56
	v_fma_f32 v57, v108, s5, -v107
	v_mul_f32_e32 v109, 0xbf29c268, v112
	v_add_f32_e32 v57, v58, v57
	v_fma_f32 v58, v108, s4, -v109
	v_mul_f32_e32 v110, 0x3f52af12, v112
	v_add_f32_e32 v58, v59, v58
	v_fma_f32 v59, v108, s3, -v110
	v_mul_f32_e32 v111, 0xbf6f5d39, v112
	v_add_f32_e32 v59, v60, v59
	v_fma_f32 v60, v108, s2, -v111
	v_mul_f32_e32 v113, 0x3df6dbef, v108
	v_add_f32_e32 v60, v61, v60
	v_mov_b32_e32 v61, v113
	v_fmac_f32_e32 v61, 0xbf7e222b, v112
	v_add_f32_e32 v61, v76, v61
	v_fmac_f32_e32 v113, 0x3f7e222b, v112
	v_mad_u32_u24 v76, v0, 52, 0
	v_add_f32_e32 v75, v75, v113
	v_lshl_add_u32 v76, v4, 2, v76
	v_cmp_gt_u32_e64 s[2:3], 14, v0
	ds_write2_b32 v76, v64, v74 offset1:1
	ds_write2_b32 v76, v71, v72 offset0:2 offset1:3
	ds_write2_b32 v76, v69, v70 offset0:4 offset1:5
	;; [unrolled: 1-line block ×5, first 2 shown]
	ds_write_b32 v76, v44 offset:48
	s_and_saveexec_b64 s[4:5], s[2:3]
	s_cbranch_execz .LBB0_15
; %bb.14:
	v_mul_f32_e32 v44, 0x3f62ad3f, v82
	v_mul_f32_e32 v62, 0x3f116cb1, v82
	;; [unrolled: 1-line block ×5, first 2 shown]
	v_add_f32_e32 v65, v81, v65
	v_add_f32_e32 v64, v79, v64
	v_add_f32_e32 v63, v78, v63
	v_add_f32_e32 v62, v77, v62
	v_add_f32_e32 v44, v73, v44
	v_add_f32_e32 v65, v1, v65
	v_add_f32_e32 v64, v1, v64
	v_add_f32_e32 v63, v1, v63
	v_add_f32_e32 v62, v1, v62
	v_add_f32_e32 v44, v1, v44
	v_add_f32_e32 v1, v1, v6
	v_add_f32_e32 v1, v1, v8
	v_add_f32_e32 v1, v1, v10
	v_add_f32_e32 v1, v1, v12
	v_add_f32_e32 v1, v1, v14
	v_mul_f32_e32 v66, 0x3f116cb1, v88
	v_add_f32_e32 v1, v1, v16
	v_mul_f32_e32 v71, 0x3df6dbef, v94
	v_add_f32_e32 v66, v80, v66
	v_add_f32_e32 v1, v1, v18
	v_mul_f32_e32 v67, 0xbeb58ec6, v88
	v_mul_f32_e32 v68, 0xbf788fa5, v88
	;; [unrolled: 1-line block ×9, first 2 shown]
	v_add_f32_e32 v44, v44, v66
	v_add_f32_e32 v66, v86, v71
	;; [unrolled: 1-line block ×3, first 2 shown]
	v_mul_f32_e32 v115, 0xbf3f9e67, v106
	v_add_f32_e32 v44, v44, v66
	v_add_f32_e32 v66, v92, v94
	;; [unrolled: 1-line block ×3, first 2 shown]
	v_mul_f32_e32 v119, 0xbf788fa5, v108
	v_add_f32_e32 v44, v44, v66
	v_add_f32_e32 v66, v98, v115
	;; [unrolled: 1-line block ×8, first 2 shown]
	v_mul_f32_e32 v112, 0xbf3f9e67, v100
	v_mul_f32_e32 v113, 0x3f62ad3f, v100
	v_mul_f32_e32 v114, 0x3df6dbef, v100
	v_mul_f32_e32 v100, 0xbf788fa5, v100
	v_add_f32_e32 v65, v65, v70
	v_add_f32_e32 v70, v93, v88
	;; [unrolled: 1-line block ×8, first 2 shown]
	v_add_u32_e32 v66, 0x127c, v76
	v_mul_f32_e32 v116, 0x3df6dbef, v106
	v_mul_f32_e32 v117, 0x3f116cb1, v106
	;; [unrolled: 1-line block ×4, first 2 shown]
	v_add_f32_e32 v65, v65, v70
	v_add_f32_e32 v70, v99, v100
	;; [unrolled: 1-line block ×8, first 2 shown]
	ds_write2_b32 v66, v1, v56 offset1:1
	v_add_u32_e32 v1, 0x1284, v76
	v_mul_f32_e32 v120, 0x3f62ad3f, v108
	v_mul_f32_e32 v121, 0xbf3f9e67, v108
	;; [unrolled: 1-line block ×4, first 2 shown]
	v_add_f32_e32 v65, v65, v70
	v_add_f32_e32 v70, v105, v106
	;; [unrolled: 1-line block ×8, first 2 shown]
	ds_write2_b32 v1, v57, v58 offset1:1
	v_add_u32_e32 v1, 0x128c, v76
	v_add_f32_e32 v65, v65, v70
	v_add_f32_e32 v70, v111, v108
	;; [unrolled: 1-line block ×8, first 2 shown]
	ds_write2_b32 v1, v59, v60 offset1:1
	v_add_u32_e32 v1, 0x1294, v76
	v_add_f32_e32 v65, v65, v70
	v_add_f32_e32 v64, v64, v69
	v_add_f32_e32 v63, v63, v68
	v_add_f32_e32 v68, v109, v121
	v_add_f32_e32 v62, v62, v67
	v_add_f32_e32 v67, v107, v120
	ds_write2_b32 v1, v61, v75 offset1:1
	v_add_u32_e32 v1, 0x129c, v76
	v_add_f32_e32 v63, v63, v68
	v_add_f32_e32 v62, v62, v67
	ds_write2_b32 v1, v65, v64 offset1:1
	v_add_u32_e32 v1, 0x12a4, v76
	ds_write2_b32 v1, v63, v62 offset1:1
	ds_write_b32 v76, v44 offset:4780
.LBB0_15:
	s_or_b64 exec, exec, s[4:5]
	v_lshlrev_b32_e32 v74, 2, v4
	v_lshlrev_b32_e32 v4, 2, v0
	v_add3_u32 v44, 0, v4, v74
	v_add_u32_e32 v64, 0x400, v44
	v_add_u32_e32 v66, 0x600, v44
	;; [unrolled: 1-line block ×5, first 2 shown]
	s_waitcnt lgkmcnt(0)
	s_barrier
	v_add3_u32 v1, 0, v74, v4
	ds_read2_b32 v[62:63], v44 offset0:91 offset1:195
	ds_read2_b32 v[64:65], v64 offset0:30 offset1:134
	;; [unrolled: 1-line block ×6, first 2 shown]
	ds_read_b32 v77, v1
	ds_read_b32 v78, v44 offset:5044
	v_cmp_gt_u32_e32 vcc, 13, v0
	s_and_saveexec_b64 s[4:5], vcc
	s_cbranch_execz .LBB0_17
; %bb.16:
	v_add_u32_e32 v56, 0x200, v44
	v_add_u32_e32 v58, 0x800, v44
	;; [unrolled: 1-line block ×3, first 2 shown]
	ds_read2_b32 v[56:57], v56 offset0:54 offset1:249
	ds_read2_b32 v[58:59], v58 offset0:60 offset1:255
	;; [unrolled: 1-line block ×3, first 2 shown]
	ds_read_b32 v75, v44 offset:5408
.LBB0_17:
	s_or_b64 exec, exec, s[4:5]
	v_add_f32_e32 v79, v45, v53
	v_add_f32_e32 v79, v79, v47
	;; [unrolled: 1-line block ×11, first 2 shown]
	v_sub_f32_e32 v52, v52, v54
	v_add_f32_e32 v86, v55, v79
	v_mul_f32_e32 v54, 0xbeedf032, v52
	v_mul_f32_e32 v79, 0xbf52af12, v52
	;; [unrolled: 1-line block ×6, first 2 shown]
	v_add_f32_e32 v53, v55, v53
	s_mov_b32 s7, 0x3f62ad3f
	v_mov_b32_e32 v55, v54
	s_mov_b32 s6, 0x3f116cb1
	v_mov_b32_e32 v80, v79
	;; [unrolled: 2-line block ×6, first 2 shown]
	v_sub_f32_e32 v46, v46, v50
	v_fmac_f32_e32 v55, 0x3f62ad3f, v53
	v_fma_f32 v54, v53, s7, -v54
	v_fmac_f32_e32 v80, 0x3f116cb1, v53
	v_fma_f32 v79, v53, s6, -v79
	;; [unrolled: 2-line block ×6, first 2 shown]
	v_add_f32_e32 v47, v47, v51
	v_mul_f32_e32 v50, 0xbf52af12, v46
	v_add_f32_e32 v55, v55, v45
	v_add_f32_e32 v54, v54, v45
	;; [unrolled: 1-line block ×12, first 2 shown]
	v_mov_b32_e32 v51, v50
	v_fma_f32 v50, v47, s6, -v50
	v_mul_f32_e32 v52, 0xbf6f5d39, v46
	v_fmac_f32_e32 v51, 0x3f116cb1, v47
	v_add_f32_e32 v50, v50, v54
	v_mov_b32_e32 v53, v52
	v_fma_f32 v52, v47, s5, -v52
	v_mul_f32_e32 v54, 0xbe750f2a, v46
	v_add_f32_e32 v51, v51, v55
	v_fmac_f32_e32 v53, 0xbeb58ec6, v47
	v_add_f32_e32 v52, v52, v79
	v_mov_b32_e32 v55, v54
	v_fma_f32 v54, v47, s11, -v54
	v_mul_f32_e32 v79, 0x3f29c268, v46
	v_add_f32_e32 v53, v53, v80
	v_add_f32_e32 v54, v54, v81
	v_mov_b32_e32 v80, v79
	v_fma_f32 v79, v47, s10, -v79
	v_mul_f32_e32 v81, 0x3f7e222b, v46
	v_mul_f32_e32 v46, 0x3eedf032, v46
	v_fmac_f32_e32 v55, 0xbf788fa5, v47
	v_add_f32_e32 v79, v79, v83
	v_mov_b32_e32 v83, v46
	v_fma_f32 v46, v47, s7, -v46
	v_sub_f32_e32 v42, v42, v48
	v_add_f32_e32 v55, v55, v82
	v_mov_b32_e32 v82, v81
	v_add_f32_e32 v45, v46, v45
	v_add_f32_e32 v43, v49, v43
	v_mul_f32_e32 v46, 0xbf7e222b, v42
	v_fmac_f32_e32 v80, 0xbf3f9e67, v47
	v_fmac_f32_e32 v82, 0x3df6dbef, v47
	v_fma_f32 v81, v47, s4, -v81
	v_fmac_f32_e32 v83, 0x3f62ad3f, v47
	v_mov_b32_e32 v47, v46
	v_fma_f32 v46, v43, s4, -v46
	v_mul_f32_e32 v48, 0xbe750f2a, v42
	v_fmac_f32_e32 v47, 0x3df6dbef, v43
	v_add_f32_e32 v46, v50, v46
	v_mov_b32_e32 v49, v48
	v_fma_f32 v48, v43, s11, -v48
	v_mul_f32_e32 v50, 0x3f6f5d39, v42
	v_add_f32_e32 v47, v51, v47
	v_fmac_f32_e32 v49, 0xbf788fa5, v43
	v_add_f32_e32 v48, v52, v48
	v_mov_b32_e32 v51, v50
	v_fma_f32 v50, v43, s5, -v50
	v_mul_f32_e32 v52, 0x3eedf032, v42
	v_add_f32_e32 v49, v53, v49
	v_fmac_f32_e32 v51, 0xbeb58ec6, v43
	v_add_f32_e32 v50, v54, v50
	v_mov_b32_e32 v53, v52
	v_fma_f32 v52, v43, s7, -v52
	v_mul_f32_e32 v54, 0xbf52af12, v42
	v_mul_f32_e32 v42, 0xbf29c268, v42
	v_sub_f32_e32 v38, v38, v40
	v_add_f32_e32 v51, v55, v51
	v_add_f32_e32 v52, v79, v52
	v_mov_b32_e32 v55, v54
	v_mov_b32_e32 v79, v42
	v_add_f32_e32 v39, v39, v41
	v_mul_f32_e32 v40, 0xbf6f5d39, v38
	v_fmac_f32_e32 v53, 0x3f62ad3f, v43
	v_fmac_f32_e32 v55, 0x3f116cb1, v43
	v_fma_f32 v54, v43, s6, -v54
	v_fmac_f32_e32 v79, 0xbf3f9e67, v43
	v_fma_f32 v42, v43, s10, -v42
	v_mov_b32_e32 v41, v40
	v_fma_f32 v40, v39, s5, -v40
	v_mul_f32_e32 v43, 0x3f29c268, v38
	v_add_f32_e32 v42, v45, v42
	v_fmac_f32_e32 v41, 0xbeb58ec6, v39
	v_add_f32_e32 v40, v40, v46
	v_mov_b32_e32 v45, v43
	v_fma_f32 v43, v39, s10, -v43
	v_mul_f32_e32 v46, 0x3eedf032, v38
	v_add_f32_e32 v41, v41, v47
	v_fmac_f32_e32 v45, 0xbf3f9e67, v39
	v_add_f32_e32 v43, v43, v48
	v_mov_b32_e32 v47, v46
	v_fma_f32 v46, v39, s7, -v46
	v_mul_f32_e32 v48, 0xbf7e222b, v38
	v_sub_f32_e32 v34, v34, v36
	v_add_f32_e32 v45, v45, v49
	v_fmac_f32_e32 v47, 0x3f62ad3f, v39
	v_add_f32_e32 v46, v46, v50
	v_mov_b32_e32 v49, v48
	v_fma_f32 v48, v39, s4, -v48
	v_mul_f32_e32 v50, 0x3e750f2a, v38
	v_mul_f32_e32 v38, 0x3f52af12, v38
	v_add_f32_e32 v35, v35, v37
	v_mul_f32_e32 v36, 0xbf29c268, v34
	v_sub_f32_e32 v30, v30, v32
	v_add_f32_e32 v47, v47, v51
	v_add_f32_e32 v48, v48, v52
	v_mov_b32_e32 v51, v50
	v_mov_b32_e32 v52, v38
	;; [unrolled: 1-line block ×3, first 2 shown]
	v_fma_f32 v36, v35, s10, -v36
	v_add_f32_e32 v31, v31, v33
	v_mul_f32_e32 v32, 0xbe750f2a, v30
	v_fmac_f32_e32 v49, 0x3df6dbef, v39
	v_fmac_f32_e32 v51, 0xbf788fa5, v39
	v_fma_f32 v50, v39, s11, -v50
	v_fmac_f32_e32 v52, 0x3f116cb1, v39
	v_fma_f32 v38, v39, s6, -v38
	v_fmac_f32_e32 v37, 0xbf3f9e67, v35
	v_add_f32_e32 v36, v36, v40
	v_mul_f32_e32 v39, 0x3f7e222b, v34
	v_mov_b32_e32 v33, v32
	v_fma_f32 v32, v31, s11, -v32
	v_add_f32_e32 v83, v83, v88
	v_add_f32_e32 v37, v37, v41
	v_mov_b32_e32 v40, v39
	v_fma_f32 v39, v35, s4, -v39
	v_fmac_f32_e32 v33, 0xbf788fa5, v31
	v_add_f32_e32 v88, v32, v36
	v_mul_f32_e32 v32, 0x3eedf032, v30
	v_add_f32_e32 v82, v82, v87
	v_fmac_f32_e32 v40, 0x3df6dbef, v35
	v_add_f32_e32 v39, v39, v43
	v_mul_f32_e32 v41, 0xbf52af12, v34
	v_add_f32_e32 v87, v33, v37
	v_mov_b32_e32 v33, v32
	v_fma_f32 v32, v31, s7, -v32
	v_add_f32_e32 v38, v38, v42
	v_add_f32_e32 v40, v40, v45
	v_mov_b32_e32 v42, v41
	v_fma_f32 v41, v35, s6, -v41
	v_fmac_f32_e32 v33, 0x3f62ad3f, v31
	v_add_f32_e32 v90, v32, v39
	v_mul_f32_e32 v32, 0xbf29c268, v30
	v_add_f32_e32 v80, v80, v84
	v_fmac_f32_e32 v42, 0x3f116cb1, v35
	v_add_f32_e32 v41, v41, v46
	v_mul_f32_e32 v43, 0x3e750f2a, v34
	v_add_f32_e32 v89, v33, v40
	v_mov_b32_e32 v33, v32
	v_fma_f32 v32, v31, s10, -v32
	v_add_f32_e32 v81, v81, v85
	v_add_f32_e32 v53, v80, v53
	;; [unrolled: 1-line block ×3, first 2 shown]
	v_mov_b32_e32 v45, v43
	v_fma_f32 v43, v35, s11, -v43
	v_fmac_f32_e32 v33, 0xbf3f9e67, v31
	v_add_f32_e32 v92, v32, v41
	v_mul_f32_e32 v32, 0x3f52af12, v30
	v_add_f32_e32 v54, v81, v54
	v_add_f32_e32 v49, v49, v53
	v_fmac_f32_e32 v45, 0xbf788fa5, v35
	v_add_f32_e32 v43, v43, v48
	v_mul_f32_e32 v46, 0x3eedf032, v34
	v_add_f32_e32 v91, v33, v42
	v_mov_b32_e32 v33, v32
	v_fma_f32 v32, v31, s6, -v32
	v_add_f32_e32 v50, v50, v54
	v_add_f32_e32 v45, v45, v49
	v_mov_b32_e32 v47, v46
	v_fma_f32 v46, v35, s7, -v46
	v_mul_f32_e32 v34, 0xbf6f5d39, v34
	v_fmac_f32_e32 v33, 0x3f116cb1, v31
	v_add_f32_e32 v94, v32, v43
	v_mul_f32_e32 v32, 0xbf6f5d39, v30
	v_add_f32_e32 v46, v46, v50
	v_mov_b32_e32 v48, v34
	v_fma_f32 v34, v35, s5, -v34
	v_add_f32_e32 v93, v33, v45
	v_mov_b32_e32 v33, v32
	v_fma_f32 v32, v31, s5, -v32
	v_mul_f32_e32 v30, 0x3f7e222b, v30
	v_add_f32_e32 v34, v34, v38
	v_add_f32_e32 v96, v32, v46
	v_mov_b32_e32 v32, v30
	v_fma_f32 v30, v31, s4, -v30
	v_add_f32_e32 v98, v30, v34
	v_sub_f32_e32 v30, v6, v28
	v_add_f32_e32 v79, v83, v79
	v_mul_f32_e32 v6, 0xbeedf032, v30
	v_add_f32_e32 v52, v52, v79
	v_fmac_f32_e32 v48, 0xbeb58ec6, v35
	v_add_f32_e32 v42, v7, v29
	v_mov_b32_e32 v28, v6
	v_sub_f32_e32 v45, v8, v26
	v_add_f32_e32 v48, v48, v52
	v_fmac_f32_e32 v32, 0x3df6dbef, v31
	v_fmac_f32_e32 v28, 0x3f62ad3f, v42
	v_mul_f32_e32 v8, 0xbf52af12, v45
	v_fmac_f32_e32 v33, 0xbeb58ec6, v31
	v_add_f32_e32 v97, v32, v48
	v_add_f32_e32 v31, v5, v28
	v_mul_f32_e32 v28, 0xbf52af12, v30
	v_mul_f32_e32 v36, 0xbf7e222b, v30
	;; [unrolled: 1-line block ×5, first 2 shown]
	v_add_f32_e32 v48, v9, v27
	v_mov_b32_e32 v26, v8
	v_mov_b32_e32 v39, v30
	v_fmac_f32_e32 v26, 0x3f116cb1, v48
	v_add_f32_e32 v55, v82, v55
	v_mov_b32_e32 v32, v28
	v_fmac_f32_e32 v39, 0xbf788fa5, v42
	v_add_f32_e32 v31, v31, v26
	v_mul_f32_e32 v26, 0xbf6f5d39, v45
	v_add_f32_e32 v51, v51, v55
	v_fmac_f32_e32 v47, 0x3f62ad3f, v35
	v_fmac_f32_e32 v32, 0x3f116cb1, v42
	v_add_f32_e32 v43, v5, v39
	v_mov_b32_e32 v39, v26
	v_add_f32_e32 v47, v47, v51
	v_add_f32_e32 v32, v5, v32
	v_fmac_f32_e32 v39, 0xbeb58ec6, v48
	v_add_f32_e32 v95, v33, v47
	v_mov_b32_e32 v33, v36
	v_add_f32_e32 v32, v32, v39
	v_mul_f32_e32 v39, 0xbe750f2a, v45
	v_fmac_f32_e32 v33, 0x3df6dbef, v42
	v_mov_b32_e32 v40, v39
	v_add_f32_e32 v33, v5, v33
	v_fmac_f32_e32 v40, 0xbf788fa5, v48
	v_mov_b32_e32 v34, v37
	v_add_f32_e32 v33, v33, v40
	v_mul_f32_e32 v40, 0x3f29c268, v45
	v_fmac_f32_e32 v34, 0xbeb58ec6, v42
	v_mov_b32_e32 v41, v40
	v_add_f32_e32 v34, v5, v34
	v_fmac_f32_e32 v41, 0xbf3f9e67, v48
	v_mov_b32_e32 v35, v38
	v_add_f32_e32 v34, v34, v41
	v_mul_f32_e32 v41, 0x3f7e222b, v45
	v_fmac_f32_e32 v35, 0xbf3f9e67, v42
	v_mov_b32_e32 v46, v41
	v_sub_f32_e32 v49, v10, v24
	v_add_f32_e32 v35, v5, v35
	v_fmac_f32_e32 v46, 0x3df6dbef, v48
	v_mul_f32_e32 v45, 0x3eedf032, v45
	v_mul_f32_e32 v10, 0xbf7e222b, v49
	v_add_f32_e32 v35, v35, v46
	v_mov_b32_e32 v46, v45
	v_add_f32_e32 v55, v11, v25
	v_mov_b32_e32 v24, v10
	v_fma_f32 v30, v42, s11, -v30
	v_fmac_f32_e32 v46, 0x3f62ad3f, v48
	v_fmac_f32_e32 v24, 0x3df6dbef, v55
	v_add_f32_e32 v30, v5, v30
	v_add_f32_e32 v47, v43, v46
	v_fma_f32 v43, v48, s7, -v45
	v_add_f32_e32 v31, v31, v24
	v_mul_f32_e32 v24, 0xbe750f2a, v49
	v_add_f32_e32 v30, v30, v43
	v_mov_b32_e32 v43, v24
	v_fmac_f32_e32 v43, 0xbf788fa5, v55
	v_add_f32_e32 v32, v32, v43
	v_mul_f32_e32 v43, 0x3f6f5d39, v49
	v_mov_b32_e32 v45, v43
	v_fmac_f32_e32 v45, 0xbeb58ec6, v55
	v_add_f32_e32 v33, v33, v45
	v_mul_f32_e32 v45, 0x3eedf032, v49
	;; [unrolled: 4-line block ×3, first 2 shown]
	v_mov_b32_e32 v50, v46
	v_sub_f32_e32 v52, v12, v22
	v_fmac_f32_e32 v50, 0x3f116cb1, v55
	v_mul_f32_e32 v49, 0xbf29c268, v49
	v_mul_f32_e32 v12, 0xbf6f5d39, v52
	v_add_f32_e32 v35, v35, v50
	v_mov_b32_e32 v50, v49
	v_add_f32_e32 v83, v13, v23
	v_mov_b32_e32 v22, v12
	v_fmac_f32_e32 v50, 0xbf3f9e67, v55
	v_fmac_f32_e32 v22, 0xbeb58ec6, v83
	v_add_f32_e32 v51, v47, v50
	v_fma_f32 v47, v55, s10, -v49
	v_add_f32_e32 v31, v31, v22
	v_mul_f32_e32 v22, 0x3f29c268, v52
	v_add_f32_e32 v30, v30, v47
	v_mov_b32_e32 v47, v22
	v_fmac_f32_e32 v47, 0xbf3f9e67, v83
	v_add_f32_e32 v32, v32, v47
	v_mul_f32_e32 v47, 0x3eedf032, v52
	v_mov_b32_e32 v49, v47
	v_fmac_f32_e32 v49, 0x3f62ad3f, v83
	v_add_f32_e32 v33, v33, v49
	v_mul_f32_e32 v49, 0xbf7e222b, v52
	;; [unrolled: 4-line block ×3, first 2 shown]
	v_mov_b32_e32 v53, v50
	v_fmac_f32_e32 v53, 0xbf788fa5, v83
	v_mul_f32_e32 v52, 0x3f52af12, v52
	v_add_f32_e32 v35, v35, v53
	v_mov_b32_e32 v53, v52
	v_fmac_f32_e32 v53, 0x3f116cb1, v83
	v_sub_f32_e32 v20, v14, v20
	v_add_f32_e32 v79, v51, v53
	v_fma_f32 v51, v83, s6, -v52
	v_mul_f32_e32 v14, 0xbf29c268, v20
	v_add_f32_e32 v30, v30, v51
	v_add_f32_e32 v84, v15, v21
	v_mov_b32_e32 v51, v14
	v_fmac_f32_e32 v51, 0xbf3f9e67, v84
	v_add_f32_e32 v31, v31, v51
	v_mul_f32_e32 v51, 0x3f7e222b, v20
	v_mov_b32_e32 v52, v51
	v_fmac_f32_e32 v52, 0x3df6dbef, v84
	v_add_f32_e32 v32, v32, v52
	v_mul_f32_e32 v52, 0xbf52af12, v20
	;; [unrolled: 4-line block ×4, first 2 shown]
	v_mov_b32_e32 v80, v54
	v_fmac_f32_e32 v80, 0x3f62ad3f, v84
	v_mul_f32_e32 v20, 0xbf6f5d39, v20
	v_sub_f32_e32 v18, v16, v18
	v_add_f32_e32 v35, v35, v80
	v_mov_b32_e32 v80, v20
	v_fma_f32 v20, v84, s5, -v20
	v_mul_f32_e32 v16, 0xbe750f2a, v18
	v_fmac_f32_e32 v80, 0xbeb58ec6, v84
	v_add_f32_e32 v20, v30, v20
	v_add_f32_e32 v85, v17, v19
	v_mov_b32_e32 v30, v16
	v_add_f32_e32 v99, v79, v80
	v_fmac_f32_e32 v30, 0xbf788fa5, v85
	v_mul_f32_e32 v79, 0x3eedf032, v18
	v_add_f32_e32 v30, v31, v30
	v_mov_b32_e32 v31, v79
	v_fmac_f32_e32 v31, 0x3f62ad3f, v85
	v_mul_f32_e32 v80, 0xbf29c268, v18
	v_add_f32_e32 v31, v32, v31
	v_mov_b32_e32 v32, v80
	;; [unrolled: 4-line block ×5, first 2 shown]
	v_fmac_f32_e32 v35, 0x3df6dbef, v85
	v_fma_f32 v18, v85, s4, -v18
	v_add_f32_e32 v35, v99, v35
	v_add_f32_e32 v18, v20, v18
	v_add_u32_e32 v20, 0x5b, v0
	s_waitcnt lgkmcnt(0)
	s_barrier
	ds_write2_b32 v76, v86, v87 offset1:1
	ds_write2_b32 v76, v89, v91 offset0:2 offset1:3
	ds_write2_b32 v76, v93, v95 offset0:4 offset1:5
	;; [unrolled: 1-line block ×5, first 2 shown]
	ds_write_b32 v76, v88 offset:48
	s_and_saveexec_b64 s[4:5], s[2:3]
	s_cbranch_execz .LBB0_19
; %bb.18:
	v_mul_f32_e32 v76, 0x3f62ad3f, v42
	v_mul_f32_e32 v86, 0x3f116cb1, v42
	v_mul_f32_e32 v89, 0x3f116cb1, v48
	v_add_f32_e32 v7, v5, v7
	v_sub_f32_e32 v6, v76, v6
	v_mul_f32_e32 v87, 0x3df6dbef, v42
	v_mul_f32_e32 v90, 0xbeb58ec6, v48
	;; [unrolled: 1-line block ×3, first 2 shown]
	v_add_f32_e32 v7, v7, v9
	v_add_f32_e32 v6, v5, v6
	v_sub_f32_e32 v9, v86, v28
	v_sub_f32_e32 v8, v89, v8
	v_mul_f32_e32 v88, 0xbeb58ec6, v42
	v_mul_f32_e32 v91, 0xbf788fa5, v48
	;; [unrolled: 1-line block ×3, first 2 shown]
	v_add_f32_e32 v7, v7, v11
	v_add_f32_e32 v9, v5, v9
	v_sub_f32_e32 v11, v87, v36
	v_add_f32_e32 v6, v6, v8
	v_sub_f32_e32 v8, v90, v26
	v_sub_f32_e32 v10, v93, v10
	v_mul_f32_e32 v42, 0xbf3f9e67, v42
	v_mul_f32_e32 v92, 0xbf3f9e67, v48
	;; [unrolled: 1-line block ×3, first 2 shown]
	v_add_f32_e32 v7, v7, v13
	v_add_f32_e32 v11, v5, v11
	v_sub_f32_e32 v13, v88, v37
	v_add_f32_e32 v8, v9, v8
	v_sub_f32_e32 v9, v91, v39
	;; [unrolled: 2-line block ×3, first 2 shown]
	v_mul_f32_e32 v48, 0x3df6dbef, v48
	v_mul_f32_e32 v96, 0x3f62ad3f, v55
	v_add_f32_e32 v7, v7, v15
	v_add_f32_e32 v13, v5, v13
	v_sub_f32_e32 v15, v42, v38
	v_add_f32_e32 v9, v11, v9
	v_sub_f32_e32 v11, v92, v40
	;; [unrolled: 2-line block ×3, first 2 shown]
	v_mul_f32_e32 v55, 0x3f116cb1, v55
	v_add_f32_e32 v5, v5, v15
	v_add_f32_e32 v11, v13, v11
	v_sub_f32_e32 v13, v48, v41
	v_add_f32_e32 v9, v9, v10
	v_sub_f32_e32 v10, v96, v45
	v_mul_f32_e32 v97, 0xbeb58ec6, v83
	v_add_f32_e32 v5, v5, v13
	v_add_f32_e32 v10, v11, v10
	v_sub_f32_e32 v11, v55, v46
	v_mul_f32_e32 v98, 0xbf3f9e67, v83
	v_add_f32_e32 v5, v5, v11
	v_sub_f32_e32 v11, v97, v12
	v_mul_f32_e32 v99, 0x3f62ad3f, v83
	;; [unrolled: 3-line block ×11, first 2 shown]
	v_add_f32_e32 v7, v7, v17
	v_add_f32_e32 v5, v5, v11
	v_sub_f32_e32 v11, v105, v16
	v_mul_f32_e32 v107, 0xbf3f9e67, v85
	v_add_f32_e32 v7, v7, v19
	v_add_f32_e32 v6, v6, v11
	v_sub_f32_e32 v11, v106, v79
	v_mul_f32_e32 v108, 0x3f116cb1, v85
	;; [unrolled: 4-line block ×3, first 2 shown]
	v_add_f32_e32 v7, v23, v7
	v_add_f32_e32 v9, v9, v11
	v_sub_f32_e32 v11, v108, v81
	v_add_f32_e32 v7, v25, v7
	v_add_f32_e32 v10, v10, v11
	v_sub_f32_e32 v11, v85, v82
	v_add_f32_e32 v7, v27, v7
	v_add_f32_e32 v5, v5, v11
	v_mul_u32_u24_e32 v11, 52, v20
	v_add_f32_e32 v7, v29, v7
	v_add3_u32 v11, 0, v11, v74
	ds_write2_b32 v11, v7, v30 offset1:1
	ds_write2_b32 v11, v31, v32 offset0:2 offset1:3
	ds_write2_b32 v11, v33, v34 offset0:4 offset1:5
	;; [unrolled: 1-line block ×5, first 2 shown]
	ds_write_b32 v11, v6 offset:48
.LBB0_19:
	s_or_b64 exec, exec, s[4:5]
	v_add_u32_e32 v7, 0x400, v44
	v_add_u32_e32 v9, 0x600, v44
	;; [unrolled: 1-line block ×5, first 2 shown]
	s_waitcnt lgkmcnt(0)
	s_barrier
	ds_read2_b32 v[5:6], v44 offset0:91 offset1:195
	ds_read2_b32 v[7:8], v7 offset0:30 offset1:134
	ds_read2_b32 v[9:10], v9 offset0:97 offset1:201
	ds_read2_b32 v[11:12], v11 offset0:36 offset1:140
	ds_read2_b32 v[13:14], v13 offset0:103 offset1:207
	ds_read2_b32 v[15:16], v15 offset0:42 offset1:146
	ds_read_b32 v17, v1
	ds_read_b32 v37, v44 offset:5044
	s_and_saveexec_b64 s[2:3], vcc
	s_cbranch_execz .LBB0_21
; %bb.20:
	v_add_u32_e32 v18, 0x200, v44
	ds_read2_b32 v[30:31], v18 offset0:54 offset1:249
	v_add_u32_e32 v18, 0x800, v44
	ds_read2_b32 v[32:33], v18 offset0:60 offset1:255
	;; [unrolled: 2-line block ×3, first 2 shown]
	ds_read_b32 v18, v44 offset:5408
.LBB0_21:
	s_or_b64 exec, exec, s[2:3]
	s_movk_i32 s2, 0x4f
	v_mul_lo_u16_sdwa v19, v0, s2 dst_sel:DWORD dst_unused:UNUSED_PAD src0_sel:BYTE_0 src1_sel:DWORD
	v_mul_lo_u16_sdwa v22, v20, s2 dst_sel:DWORD dst_unused:UNUSED_PAD src0_sel:BYTE_0 src1_sel:DWORD
	v_lshrrev_b16_e32 v47, 10, v19
	v_lshrrev_b16_e32 v76, 10, v22
	v_mul_lo_u16_e32 v19, 13, v47
	v_mul_lo_u16_e32 v22, 13, v76
	v_sub_u16_e32 v55, v0, v19
	v_mov_b32_e32 v19, 6
	v_sub_u16_e32 v107, v20, v22
	v_mul_u32_u24_sdwa v21, v55, v19 dst_sel:DWORD dst_unused:UNUSED_PAD src0_sel:BYTE_0 src1_sel:DWORD
	v_mul_u32_u24_sdwa v19, v107, v19 dst_sel:DWORD dst_unused:UNUSED_PAD src0_sel:BYTE_0 src1_sel:DWORD
	v_lshlrev_b32_e32 v21, 3, v21
	v_lshlrev_b32_e32 v19, 3, v19
	global_load_dwordx4 v[38:41], v21, s[8:9]
	global_load_dwordx4 v[51:54], v21, s[8:9] offset:16
	global_load_dwordx4 v[79:82], v21, s[8:9] offset:32
	global_load_dwordx4 v[83:86], v19, s[8:9]
	v_add_u32_e32 v21, 0xb6, v0
	s_movk_i32 s2, 0x4ec5
	global_load_dwordx4 v[87:90], v19, s[8:9] offset:32
	global_load_dwordx4 v[91:94], v19, s[8:9] offset:16
	v_mul_u32_u24_sdwa v19, v21, s2 dst_sel:DWORD dst_unused:UNUSED_PAD src0_sel:WORD_0 src1_sel:DWORD
	v_lshrrev_b32_e32 v19, 18, v19
	v_mul_lo_u16_e32 v19, 13, v19
	v_sub_u16_e32 v108, v21, v19
	v_mul_u32_u24_e32 v19, 6, v108
	v_lshlrev_b32_e32 v19, 3, v19
	global_load_dwordx4 v[95:98], v19, s[8:9]
	global_load_dwordx4 v[99:102], v19, s[8:9] offset:16
	global_load_dwordx4 v[103:106], v19, s[8:9] offset:32
	s_mov_b32 s4, 0x3f5ff5aa
	s_mov_b32 s5, 0x3f3bfb3b
	;; [unrolled: 1-line block ×4, first 2 shown]
	s_movk_i32 s2, 0x16c
	v_mad_u32_u24 v47, v47, s2, 0
	s_waitcnt vmcnt(0) lgkmcnt(0)
	s_barrier
	v_mul_f32_e32 v48, v6, v39
	v_mul_f32_e32 v27, v63, v39
	;; [unrolled: 1-line block ×20, first 2 shown]
	v_fma_f32 v48, v63, v38, -v48
	v_fmac_f32_e32 v27, v6, v38
	v_fmac_f32_e32 v24, v13, v93
	v_mul_f32_e32 v38, v59, v100
	v_mul_f32_e32 v13, v34, v102
	;; [unrolled: 1-line block ×11, first 2 shown]
	v_fma_f32 v49, v65, v40, -v39
	v_fmac_f32_e32 v38, v33, v99
	v_fma_f32 v33, v60, v101, -v13
	v_mul_f32_e32 v39, v60, v102
	v_mul_f32_e32 v13, v35, v104
	v_fmac_f32_e32 v28, v8, v40
	v_fmac_f32_e32 v43, v12, v53
	v_fma_f32 v12, v71, v79, -v54
	v_fmac_f32_e32 v45, v14, v79
	v_fma_f32 v14, v73, v81, -v80
	;; [unrolled: 2-line block ×3, first 2 shown]
	v_mul_f32_e32 v40, v61, v104
	v_mul_f32_e32 v13, v18, v106
	v_fma_f32 v50, v67, v51, -v41
	v_fmac_f32_e32 v42, v10, v51
	v_fma_f32 v51, v69, v53, -v52
	v_fmac_f32_e32 v46, v16, v81
	v_fmac_f32_e32 v40, v35, v103
	v_fma_f32 v35, v75, v105, -v13
	v_add_f32_e32 v13, v48, v14
	v_add_f32_e32 v16, v49, v12
	v_mul_f32_e32 v41, v75, v106
	v_add_f32_e32 v52, v50, v51
	v_add_f32_e32 v54, v16, v13
	v_fmac_f32_e32 v26, v37, v89
	v_fma_f32 v37, v57, v95, -v90
	v_fmac_f32_e32 v41, v18, v105
	v_sub_f32_e32 v18, v28, v45
	v_sub_f32_e32 v53, v43, v42
	;; [unrolled: 1-line block ×5, first 2 shown]
	v_add_f32_e32 v52, v52, v54
	v_fmac_f32_e32 v25, v15, v87
	v_fmac_f32_e32 v29, v31, v95
	v_fma_f32 v31, v58, v97, -v96
	v_fmac_f32_e32 v36, v32, v97
	v_fma_f32 v32, v59, v99, -v98
	v_sub_f32_e32 v15, v27, v46
	v_add_f32_e32 v58, v53, v18
	v_sub_f32_e32 v59, v53, v18
	v_add_f32_e32 v54, v77, v52
	v_sub_f32_e32 v53, v15, v53
	v_sub_f32_e32 v18, v18, v15
	v_add_f32_e32 v15, v58, v15
	v_mul_f32_e32 v13, 0x3f4a47b2, v13
	v_mul_f32_e32 v58, 0x3d64c772, v16
	v_mul_f32_e32 v59, 0xbf08b237, v59
	v_mov_b32_e32 v61, v54
	v_mul_f32_e32 v60, 0x3f5ff5aa, v18
	v_fmac_f32_e32 v61, 0xbf955555, v52
	v_fma_f32 v52, v57, s5, -v58
	v_fma_f32 v57, v57, s6, -v13
	v_fmac_f32_e32 v13, 0x3d64c772, v16
	v_fma_f32 v16, v18, s4, -v59
	v_fmac_f32_e32 v59, 0x3eae86e6, v53
	;; [unrolled: 2-line block ×4, first 2 shown]
	v_fma_f32 v10, v72, v87, -v94
	v_fma_f32 v11, v78, v89, -v88
	;; [unrolled: 1-line block ×3, first 2 shown]
	v_add_f32_e32 v13, v13, v61
	v_add_f32_e32 v52, v52, v61
	v_fmac_f32_e32 v59, 0x3ee1c552, v15
	v_fmac_f32_e32 v16, 0x3ee1c552, v15
	;; [unrolled: 1-line block ×3, first 2 shown]
	v_fma_f32 v8, v68, v91, -v86
	v_fma_f32 v9, v70, v93, -v92
	v_fmac_f32_e32 v18, 0x3ee1c552, v15
	v_add_f32_e32 v15, v59, v13
	v_sub_f32_e32 v58, v52, v16
	v_add_f32_e32 v16, v16, v52
	v_sub_f32_e32 v13, v13, v59
	v_add_f32_e32 v52, v6, v11
	v_add_f32_e32 v59, v7, v10
	;; [unrolled: 1-line block ×6, first 2 shown]
	v_sub_f32_e32 v18, v53, v18
	v_sub_f32_e32 v53, v19, v26
	;; [unrolled: 1-line block ×7, first 2 shown]
	v_add_f32_e32 v61, v61, v64
	v_add_f32_e32 v66, v63, v60
	v_sub_f32_e32 v67, v63, v60
	v_sub_f32_e32 v60, v60, v53
	v_add_f32_e32 v62, v62, v61
	v_sub_f32_e32 v63, v53, v63
	v_add_f32_e32 v53, v66, v53
	v_mul_f32_e32 v52, 0x3f4a47b2, v52
	v_mul_f32_e32 v64, 0x3d64c772, v59
	;; [unrolled: 1-line block ×4, first 2 shown]
	v_mov_b32_e32 v68, v62
	v_fmac_f32_e32 v68, 0xbf955555, v61
	v_fma_f32 v61, v65, s5, -v64
	v_fma_f32 v64, v65, s6, -v52
	v_fmac_f32_e32 v52, 0x3d64c772, v59
	v_fma_f32 v59, v60, s4, -v66
	v_fmac_f32_e32 v66, 0x3eae86e6, v63
	v_fma_f32 v60, v63, s7, -v67
	v_add_f32_e32 v52, v52, v68
	v_add_f32_e32 v61, v61, v68
	v_fmac_f32_e32 v66, 0x3ee1c552, v53
	v_fmac_f32_e32 v59, 0x3ee1c552, v53
	v_fmac_f32_e32 v60, 0x3ee1c552, v53
	v_mov_b32_e32 v53, 2
	v_add_f32_e32 v63, v64, v68
	v_add_f32_e32 v64, v66, v52
	v_sub_f32_e32 v67, v61, v59
	v_add_f32_e32 v59, v59, v61
	v_sub_f32_e32 v61, v52, v66
	v_lshlrev_b32_sdwa v52, v53, v55 dst_sel:DWORD dst_unused:UNUSED_PAD src0_sel:DWORD src1_sel:BYTE_0
	v_add3_u32 v52, v47, v52, v74
	ds_write2_b32 v52, v54, v15 offset1:13
	ds_write2_b32 v52, v57, v58 offset0:26 offset1:39
	ds_write2_b32 v52, v16, v18 offset0:52 offset1:65
	ds_write_b32 v52, v13 offset:312
	v_mad_u32_u24 v13, v76, s2, 0
	v_lshlrev_b32_sdwa v15, v53, v107 dst_sel:DWORD dst_unused:UNUSED_PAD src0_sel:DWORD src1_sel:BYTE_0
	v_add3_u32 v53, v13, v15, v74
	v_lshlrev_b32_e32 v47, 2, v108
	v_add_f32_e32 v65, v60, v63
	v_sub_f32_e32 v60, v63, v60
	ds_write2_b32 v53, v62, v64 offset1:13
	ds_write2_b32 v53, v65, v67 offset0:26 offset1:39
	ds_write2_b32 v53, v59, v60 offset0:52 offset1:65
	ds_write_b32 v53, v61 offset:312
	s_and_saveexec_b64 s[2:3], vcc
	s_cbranch_execz .LBB0_23
; %bb.22:
	v_add_f32_e32 v13, v37, v35
	v_add_f32_e32 v15, v32, v33
	v_sub_f32_e32 v16, v13, v15
	v_mul_f32_e32 v16, 0x3f4a47b2, v16
	v_add_f32_e32 v18, v31, v34
	v_sub_f32_e32 v54, v15, v18
	v_mov_b32_e32 v57, v16
	v_mul_f32_e32 v55, 0x3d64c772, v54
	v_fmac_f32_e32 v57, 0x3d64c772, v54
	v_add_f32_e32 v54, v18, v13
	v_add_f32_e32 v15, v15, v54
	;; [unrolled: 1-line block ×3, first 2 shown]
	v_mov_b32_e32 v56, v54
	v_fmac_f32_e32 v56, 0xbf955555, v15
	v_sub_f32_e32 v58, v39, v38
	v_sub_f32_e32 v60, v36, v40
	v_add_f32_e32 v15, v57, v56
	v_sub_f32_e32 v57, v29, v41
	v_sub_f32_e32 v61, v58, v60
	;; [unrolled: 1-line block ×3, first 2 shown]
	v_mul_f32_e32 v61, 0xbf08b237, v61
	v_add_f32_e32 v58, v58, v60
	v_sub_f32_e32 v13, v18, v13
	v_sub_f32_e32 v18, v60, v57
	v_mov_b32_e32 v62, v61
	v_add_f32_e32 v58, v58, v57
	v_fma_f32 v16, v13, s6, -v16
	v_mul_f32_e32 v57, 0x3f5ff5aa, v18
	v_fma_f32 v18, v18, s4, -v61
	v_fma_f32 v13, v13, s5, -v55
	v_fmac_f32_e32 v62, 0x3eae86e6, v59
	v_fmac_f32_e32 v18, 0x3ee1c552, v58
	v_add_f32_e32 v13, v13, v56
	v_fmac_f32_e32 v62, 0x3ee1c552, v58
	v_fma_f32 v57, v59, s7, -v57
	v_add_f32_e32 v55, v18, v13
	v_sub_f32_e32 v13, v13, v18
	v_add3_u32 v18, 0, v47, v74
	v_sub_f32_e32 v63, v15, v62
	v_add_f32_e32 v16, v16, v56
	v_fmac_f32_e32 v57, 0x3ee1c552, v58
	v_add_f32_e32 v15, v62, v15
	v_add_u32_e32 v56, 0x1200, v18
	v_sub_f32_e32 v59, v16, v57
	v_add_f32_e32 v16, v57, v16
	ds_write2_b32 v56, v54, v15 offset0:122 offset1:135
	v_add_u32_e32 v15, 0x1400, v18
	ds_write2_b32 v15, v16, v13 offset0:20 offset1:33
	ds_write2_b32 v15, v55, v59 offset0:46 offset1:59
	ds_write_b32 v18, v63 offset:5408
.LBB0_23:
	s_or_b64 exec, exec, s[2:3]
	v_add_f32_e32 v13, v27, v46
	v_add_f32_e32 v15, v28, v45
	v_sub_f32_e32 v12, v49, v12
	v_add_f32_e32 v16, v42, v43
	v_sub_f32_e32 v18, v51, v50
	;; [unrolled: 2-line block ×3, first 2 shown]
	v_sub_f32_e32 v28, v15, v13
	v_sub_f32_e32 v13, v13, v16
	;; [unrolled: 1-line block ×3, first 2 shown]
	v_add_f32_e32 v42, v18, v12
	v_add_f32_e32 v16, v16, v27
	v_sub_f32_e32 v43, v18, v12
	v_sub_f32_e32 v18, v14, v18
	;; [unrolled: 1-line block ×3, first 2 shown]
	v_add_f32_e32 v14, v42, v14
	v_add_f32_e32 v42, v17, v16
	v_mul_f32_e32 v17, 0x3d64c772, v15
	v_mul_f32_e32 v27, 0xbf08b237, v43
	v_mov_b32_e32 v45, v42
	v_mul_f32_e32 v43, 0x3f5ff5aa, v12
	v_fmac_f32_e32 v45, 0xbf955555, v16
	v_fma_f32 v16, v28, s5, -v17
	v_fma_f32 v12, v12, s4, -v27
	v_add_f32_e32 v16, v16, v45
	v_fmac_f32_e32 v12, 0x3ee1c552, v14
	v_mul_f32_e32 v13, 0x3f4a47b2, v13
	v_add_f32_e32 v46, v12, v16
	v_sub_f32_e32 v48, v16, v12
	v_add_f32_e32 v12, v19, v26
	v_sub_f32_e32 v6, v6, v11
	v_add_f32_e32 v11, v22, v25
	v_fma_f32 v17, v28, s6, -v13
	v_fmac_f32_e32 v13, 0x3d64c772, v15
	v_fmac_f32_e32 v27, 0x3eae86e6, v18
	v_fma_f32 v15, v18, s7, -v43
	v_sub_f32_e32 v7, v7, v10
	v_add_f32_e32 v10, v23, v24
	v_sub_f32_e32 v8, v9, v8
	v_add_f32_e32 v9, v11, v12
	v_add_f32_e32 v13, v13, v45
	;; [unrolled: 1-line block ×3, first 2 shown]
	v_fmac_f32_e32 v27, 0x3ee1c552, v14
	v_fmac_f32_e32 v15, 0x3ee1c552, v14
	v_add_f32_e32 v9, v10, v9
	v_sub_f32_e32 v43, v13, v27
	v_sub_f32_e32 v45, v17, v15
	v_add_f32_e32 v49, v15, v17
	v_add_f32_e32 v50, v27, v13
	v_sub_f32_e32 v13, v11, v12
	v_sub_f32_e32 v12, v12, v10
	v_sub_f32_e32 v11, v10, v11
	v_add_f32_e32 v14, v8, v7
	v_sub_f32_e32 v15, v8, v7
	v_sub_f32_e32 v7, v7, v6
	v_add_f32_e32 v5, v5, v9
	v_sub_f32_e32 v8, v6, v8
	v_add_f32_e32 v6, v14, v6
	v_mul_f32_e32 v10, 0x3f4a47b2, v12
	v_mul_f32_e32 v12, 0x3d64c772, v11
	;; [unrolled: 1-line block ×4, first 2 shown]
	v_mov_b32_e32 v16, v5
	v_fmac_f32_e32 v16, 0xbf955555, v9
	v_fma_f32 v9, v13, s5, -v12
	v_fma_f32 v12, v13, s6, -v10
	v_fmac_f32_e32 v10, 0x3d64c772, v11
	v_fma_f32 v7, v7, s4, -v14
	v_fmac_f32_e32 v14, 0x3eae86e6, v8
	v_fma_f32 v8, v8, s7, -v15
	v_add_f32_e32 v10, v10, v16
	v_add_f32_e32 v9, v9, v16
	;; [unrolled: 1-line block ×3, first 2 shown]
	v_fmac_f32_e32 v14, 0x3ee1c552, v6
	v_fmac_f32_e32 v7, 0x3ee1c552, v6
	;; [unrolled: 1-line block ×3, first 2 shown]
	v_add_u32_e32 v22, 0x400, v44
	v_add_u32_e32 v24, 0x600, v44
	;; [unrolled: 1-line block ×6, first 2 shown]
	v_sub_f32_e32 v51, v10, v14
	v_sub_f32_e32 v54, v11, v8
	v_add_f32_e32 v55, v7, v9
	v_sub_f32_e32 v56, v9, v7
	v_add_f32_e32 v57, v8, v11
	v_add_f32_e32 v58, v14, v10
	s_waitcnt lgkmcnt(0)
	s_barrier
	ds_read_b32 v28, v1
	ds_read2_b32 v[16:17], v22 offset0:17 offset1:108
	ds_read2_b32 v[8:9], v24 offset0:71 offset1:162
	;; [unrolled: 1-line block ×7, first 2 shown]
	s_waitcnt lgkmcnt(0)
	s_barrier
	ds_write2_b32 v52, v42, v43 offset1:13
	ds_write2_b32 v52, v45, v46 offset0:26 offset1:39
	ds_write2_b32 v52, v48, v49 offset0:52 offset1:65
	ds_write_b32 v52, v50 offset:312
	ds_write2_b32 v53, v5, v51 offset1:13
	ds_write2_b32 v53, v54, v55 offset0:26 offset1:39
	ds_write2_b32 v53, v56, v57 offset0:52 offset1:65
	ds_write_b32 v53, v58 offset:312
	s_and_saveexec_b64 s[2:3], vcc
	s_cbranch_execz .LBB0_25
; %bb.24:
	v_add_f32_e32 v5, v29, v41
	v_sub_f32_e32 v29, v37, v35
	v_add_f32_e32 v35, v36, v40
	v_sub_f32_e32 v31, v31, v34
	;; [unrolled: 2-line block ×3, first 2 shown]
	v_add_f32_e32 v33, v35, v5
	v_add_f32_e32 v33, v34, v33
	v_sub_f32_e32 v36, v35, v5
	v_sub_f32_e32 v35, v34, v35
	v_add_f32_e32 v37, v32, v31
	v_sub_f32_e32 v38, v32, v31
	v_add_f32_e32 v30, v30, v33
	v_sub_f32_e32 v5, v5, v34
	v_sub_f32_e32 v32, v29, v32
	;; [unrolled: 1-line block ×3, first 2 shown]
	v_add_f32_e32 v29, v37, v29
	v_mul_f32_e32 v34, 0x3d64c772, v35
	v_mul_f32_e32 v37, 0xbf08b237, v38
	v_mov_b32_e32 v39, v30
	v_mul_f32_e32 v5, 0x3f4a47b2, v5
	v_mul_f32_e32 v38, 0x3f5ff5aa, v31
	v_fmac_f32_e32 v39, 0xbf955555, v33
	v_fma_f32 v33, v36, s5, -v34
	s_mov_b32 s5, 0xbf3bfb3b
	v_fma_f32 v31, v31, s4, -v37
	s_mov_b32 s4, 0xbeae86e6
	v_fma_f32 v34, v36, s5, -v5
	v_fmac_f32_e32 v5, 0x3d64c772, v35
	v_fmac_f32_e32 v37, 0x3eae86e6, v32
	v_fma_f32 v32, v32, s4, -v38
	v_add_f32_e32 v33, v33, v39
	v_fmac_f32_e32 v31, 0x3ee1c552, v29
	v_add_f32_e32 v5, v5, v39
	v_add_f32_e32 v34, v34, v39
	v_fmac_f32_e32 v37, 0x3ee1c552, v29
	v_fmac_f32_e32 v32, 0x3ee1c552, v29
	v_add_f32_e32 v36, v31, v33
	v_sub_f32_e32 v31, v33, v31
	v_add3_u32 v33, 0, v47, v74
	v_sub_f32_e32 v29, v5, v37
	v_sub_f32_e32 v35, v34, v32
	v_add_f32_e32 v32, v32, v34
	v_add_u32_e32 v34, 0x1200, v33
	ds_write2_b32 v34, v30, v29 offset0:122 offset1:135
	v_add_u32_e32 v29, 0x1400, v33
	v_add_f32_e32 v5, v37, v5
	ds_write2_b32 v29, v35, v36 offset0:20 offset1:33
	ds_write2_b32 v29, v31, v32 offset0:46 offset1:59
	ds_write_b32 v33, v5 offset:5408
.LBB0_25:
	s_or_b64 exec, exec, s[2:3]
	v_mov_b32_e32 v5, 0
	v_lshlrev_b64 v[29:30], 3, v[4:5]
	v_mov_b32_e32 v4, s9
	v_add_co_u32_e32 v37, vcc, s8, v29
	s_movk_i32 s2, 0x6817
	v_addc_co_u32_e32 v38, vcc, v4, v30, vcc
	v_mul_u32_u24_sdwa v4, v21, s2 dst_sel:DWORD dst_unused:UNUSED_PAD src0_sel:WORD_0 src1_sel:DWORD
	s_waitcnt lgkmcnt(0)
	s_barrier
	global_load_dwordx4 v[29:32], v[37:38], off offset:624
	global_load_dwordx4 v[33:36], v[37:38], off offset:640
	v_sub_u16_sdwa v37, v21, v4 dst_sel:DWORD dst_unused:UNUSED_PAD src0_sel:DWORD src1_sel:WORD_1
	v_lshrrev_b16_e32 v37, 1, v37
	v_add_u16_sdwa v4, v37, v4 dst_sel:DWORD dst_unused:UNUSED_PAD src0_sel:DWORD src1_sel:WORD_1
	v_lshrrev_b16_e32 v4, 6, v4
	v_mul_lo_u16_e32 v4, 0x5b, v4
	v_sub_u16_e32 v4, v21, v4
	v_lshlrev_b32_e32 v41, 5, v4
	global_load_dwordx4 v[37:40], v41, s[8:9] offset:624
	global_load_dwordx4 v[45:48], v41, s[8:9] offset:640
	ds_read_b32 v43, v1
	ds_read2_b32 v[41:42], v22 offset0:17 offset1:108
	ds_read2_b32 v[49:50], v24 offset0:71 offset1:162
	;; [unrolled: 1-line block ×7, first 2 shown]
	v_lshlrev_b32_e32 v4, 2, v4
	s_waitcnt vmcnt(0) lgkmcnt(0)
	s_barrier
	v_add3_u32 v4, 0, v4, v74
	v_mul_f32_e32 v63, v50, v32
	v_mul_f32_e32 v65, v51, v34
	;; [unrolled: 1-line block ×6, first 2 shown]
	v_fma_f32 v9, v9, v31, -v63
	v_fma_f32 v18, v18, v33, -v65
	v_mul_f32_e32 v62, v16, v30
	v_mul_f32_e32 v68, v11, v36
	v_fmac_f32_e32 v64, v50, v31
	v_fma_f32 v14, v14, v31, -v70
	v_fmac_f32_e32 v32, v57, v31
	v_add_f32_e32 v31, v9, v18
	v_mul_f32_e32 v61, v41, v30
	v_mul_f32_e32 v67, v54, v36
	;; [unrolled: 1-line block ×6, first 2 shown]
	v_fmac_f32_e32 v62, v41, v29
	v_fmac_f32_e32 v68, v54, v35
	v_fma_f32 v31, -0.5, v31, v28
	v_mul_f32_e32 v72, v59, v36
	v_mul_f32_e32 v36, v12, v36
	v_fma_f32 v16, v16, v29, -v61
	v_fmac_f32_e32 v66, v51, v33
	v_fma_f32 v11, v11, v35, -v67
	v_fmac_f32_e32 v30, v42, v29
	;; [unrolled: 2-line block ×3, first 2 shown]
	v_sub_f32_e32 v33, v62, v68
	v_mov_b32_e32 v41, v31
	v_mul_f32_e32 v42, v49, v38
	v_mul_f32_e32 v38, v8, v38
	;; [unrolled: 1-line block ×4, first 2 shown]
	v_fma_f32 v12, v12, v35, -v72
	v_fmac_f32_e32 v36, v59, v35
	v_sub_f32_e32 v35, v64, v66
	v_fmac_f32_e32 v41, 0x3f737871, v33
	v_fma_f32 v8, v8, v37, -v42
	v_fmac_f32_e32 v38, v49, v37
	v_fma_f32 v15, v15, v39, -v50
	v_fmac_f32_e32 v40, v58, v39
	v_sub_f32_e32 v37, v16, v9
	v_sub_f32_e32 v39, v11, v18
	v_fmac_f32_e32 v31, 0xbf737871, v33
	v_fmac_f32_e32 v41, 0x3f167918, v35
	v_add_f32_e32 v37, v37, v39
	v_fmac_f32_e32 v31, 0xbf167918, v35
	v_fmac_f32_e32 v41, 0x3e9e377a, v37
	;; [unrolled: 1-line block ×3, first 2 shown]
	v_add_f32_e32 v37, v16, v11
	v_fma_f32 v17, v17, v29, -v69
	v_add_f32_e32 v29, v28, v16
	v_fmac_f32_e32 v28, -0.5, v37
	v_mov_b32_e32 v37, v28
	v_add_f32_e32 v29, v29, v9
	v_fmac_f32_e32 v37, 0xbf737871, v35
	v_sub_f32_e32 v39, v9, v16
	v_sub_f32_e32 v42, v18, v11
	v_fmac_f32_e32 v28, 0x3f737871, v35
	v_add_f32_e32 v35, v64, v66
	v_add_f32_e32 v29, v29, v18
	v_fmac_f32_e32 v37, 0x3f167918, v33
	v_add_f32_e32 v39, v39, v42
	v_fmac_f32_e32 v28, 0xbf167918, v33
	v_fma_f32 v35, -0.5, v35, v43
	v_add_f32_e32 v29, v29, v11
	v_fmac_f32_e32 v37, 0x3e9e377a, v39
	v_fmac_f32_e32 v28, 0x3e9e377a, v39
	v_sub_f32_e32 v11, v16, v11
	v_mov_b32_e32 v39, v35
	v_fmac_f32_e32 v39, 0xbf737871, v11
	v_sub_f32_e32 v9, v9, v18
	v_sub_f32_e32 v16, v62, v64
	;; [unrolled: 1-line block ×3, first 2 shown]
	v_fmac_f32_e32 v35, 0x3f737871, v11
	v_fmac_f32_e32 v39, 0xbf167918, v9
	v_add_f32_e32 v16, v16, v18
	v_fmac_f32_e32 v35, 0x3f167918, v9
	v_fmac_f32_e32 v39, 0x3e9e377a, v16
	;; [unrolled: 1-line block ×3, first 2 shown]
	v_add_f32_e32 v16, v62, v68
	v_add_f32_e32 v33, v43, v62
	v_fmac_f32_e32 v43, -0.5, v16
	v_mov_b32_e32 v42, v43
	v_fmac_f32_e32 v42, 0x3f737871, v9
	v_fmac_f32_e32 v43, 0xbf737871, v9
	;; [unrolled: 1-line block ×3, first 2 shown]
	v_sub_f32_e32 v16, v64, v62
	v_sub_f32_e32 v18, v66, v68
	v_fmac_f32_e32 v43, 0x3f167918, v11
	v_add_f32_e32 v11, v14, v19
	v_add_f32_e32 v16, v16, v18
	v_fma_f32 v11, -0.5, v11, v6
	v_mul_f32_e32 v51, v53, v46
	v_mul_f32_e32 v46, v10, v46
	v_mul_f32_e32 v52, v60, v48
	v_mul_f32_e32 v48, v13, v48
	v_fmac_f32_e32 v42, 0x3e9e377a, v16
	v_fmac_f32_e32 v43, 0x3e9e377a, v16
	v_sub_f32_e32 v16, v30, v36
	v_mov_b32_e32 v18, v11
	v_fma_f32 v10, v10, v45, -v51
	v_fmac_f32_e32 v46, v53, v45
	v_fma_f32 v13, v13, v47, -v52
	v_fmac_f32_e32 v48, v60, v47
	v_fmac_f32_e32 v18, 0x3f737871, v16
	v_sub_f32_e32 v45, v32, v34
	v_sub_f32_e32 v47, v17, v14
	;; [unrolled: 1-line block ×3, first 2 shown]
	v_fmac_f32_e32 v11, 0xbf737871, v16
	v_fmac_f32_e32 v18, 0x3f167918, v45
	v_add_f32_e32 v47, v47, v49
	v_fmac_f32_e32 v11, 0xbf167918, v45
	v_fmac_f32_e32 v18, 0x3e9e377a, v47
	;; [unrolled: 1-line block ×3, first 2 shown]
	v_add_f32_e32 v47, v17, v12
	v_add_f32_e32 v9, v6, v17
	v_fma_f32 v6, -0.5, v47, v6
	v_mov_b32_e32 v47, v6
	v_fmac_f32_e32 v47, 0xbf737871, v45
	v_fmac_f32_e32 v6, 0x3f737871, v45
	;; [unrolled: 1-line block ×4, first 2 shown]
	v_add_f32_e32 v16, v55, v30
	v_add_f32_e32 v16, v16, v32
	v_sub_f32_e32 v49, v14, v17
	v_sub_f32_e32 v50, v19, v12
	v_add_f32_e32 v16, v16, v34
	v_add_f32_e32 v9, v9, v14
	;; [unrolled: 1-line block ×6, first 2 shown]
	v_fmac_f32_e32 v47, 0x3e9e377a, v49
	v_fmac_f32_e32 v6, 0x3e9e377a, v49
	v_fma_f32 v49, -0.5, v16, v55
	v_add_f32_e32 v9, v9, v12
	v_sub_f32_e32 v12, v17, v12
	v_mov_b32_e32 v50, v49
	v_fmac_f32_e32 v50, 0xbf737871, v12
	v_sub_f32_e32 v14, v14, v19
	v_sub_f32_e32 v16, v30, v32
	;; [unrolled: 1-line block ×3, first 2 shown]
	v_fmac_f32_e32 v49, 0x3f737871, v12
	v_fmac_f32_e32 v50, 0xbf167918, v14
	v_add_f32_e32 v16, v16, v17
	v_fmac_f32_e32 v49, 0x3f167918, v14
	v_fmac_f32_e32 v50, 0x3e9e377a, v16
	;; [unrolled: 1-line block ×3, first 2 shown]
	v_add_f32_e32 v16, v30, v36
	v_fma_f32 v51, -0.5, v16, v55
	v_mov_b32_e32 v52, v51
	v_fmac_f32_e32 v52, 0x3f737871, v14
	v_sub_f32_e32 v16, v32, v30
	v_sub_f32_e32 v17, v34, v36
	v_fmac_f32_e32 v51, 0xbf737871, v14
	v_add_f32_e32 v14, v15, v10
	v_fmac_f32_e32 v52, 0xbf167918, v12
	v_add_f32_e32 v16, v16, v17
	v_fmac_f32_e32 v51, 0x3f167918, v12
	v_fma_f32 v14, -0.5, v14, v7
	v_fmac_f32_e32 v52, 0x3e9e377a, v16
	v_fmac_f32_e32 v51, 0x3e9e377a, v16
	v_sub_f32_e32 v16, v38, v48
	v_mov_b32_e32 v17, v14
	v_fmac_f32_e32 v17, 0x3f737871, v16
	v_sub_f32_e32 v19, v40, v46
	v_sub_f32_e32 v30, v8, v15
	;; [unrolled: 1-line block ×3, first 2 shown]
	v_fmac_f32_e32 v14, 0xbf737871, v16
	v_fmac_f32_e32 v17, 0x3f167918, v19
	v_add_f32_e32 v30, v30, v32
	v_fmac_f32_e32 v14, 0xbf167918, v19
	v_fmac_f32_e32 v17, 0x3e9e377a, v30
	;; [unrolled: 1-line block ×3, first 2 shown]
	v_add_f32_e32 v30, v8, v13
	v_add_f32_e32 v12, v7, v8
	v_fmac_f32_e32 v7, -0.5, v30
	v_mov_b32_e32 v30, v7
	v_fmac_f32_e32 v30, 0xbf737871, v19
	v_fmac_f32_e32 v7, 0x3f737871, v19
	;; [unrolled: 1-line block ×4, first 2 shown]
	v_add_f32_e32 v16, v56, v38
	v_sub_f32_e32 v32, v15, v8
	v_sub_f32_e32 v34, v10, v13
	v_add_f32_e32 v16, v16, v40
	v_add_f32_e32 v32, v32, v34
	;; [unrolled: 1-line block ×3, first 2 shown]
	v_fmac_f32_e32 v30, 0x3e9e377a, v32
	v_fmac_f32_e32 v7, 0x3e9e377a, v32
	v_add_f32_e32 v32, v16, v48
	v_add_f32_e32 v16, v40, v46
	v_add_f32_e32 v12, v12, v15
	v_fma_f32 v34, -0.5, v16, v56
	v_add_f32_e32 v12, v12, v10
	v_sub_f32_e32 v8, v8, v13
	v_mov_b32_e32 v36, v34
	v_add_f32_e32 v12, v12, v13
	v_fmac_f32_e32 v36, 0xbf737871, v8
	v_sub_f32_e32 v10, v15, v10
	v_sub_f32_e32 v13, v38, v40
	;; [unrolled: 1-line block ×3, first 2 shown]
	v_fmac_f32_e32 v34, 0x3f737871, v8
	v_fmac_f32_e32 v36, 0xbf167918, v10
	v_add_f32_e32 v13, v13, v15
	v_fmac_f32_e32 v34, 0x3f167918, v10
	v_fmac_f32_e32 v36, 0x3e9e377a, v13
	;; [unrolled: 1-line block ×3, first 2 shown]
	v_add_f32_e32 v13, v38, v48
	v_fmac_f32_e32 v56, -0.5, v13
	v_mov_b32_e32 v53, v56
	v_fmac_f32_e32 v53, 0x3f737871, v10
	v_sub_f32_e32 v13, v40, v38
	v_sub_f32_e32 v15, v46, v48
	v_fmac_f32_e32 v56, 0xbf737871, v10
	ds_write2_b32 v44, v29, v41 offset1:91
	v_add_u32_e32 v29, 0x200, v44
	v_fmac_f32_e32 v53, 0xbf167918, v8
	v_add_f32_e32 v13, v13, v15
	v_fmac_f32_e32 v56, 0x3f167918, v8
	ds_write2_b32 v29, v37, v28 offset0:54 offset1:145
	ds_write2_b32 v22, v31, v9 offset0:108 offset1:199
	ds_write2_b32 v23, v18, v47 offset0:34 offset1:125
	v_add_u32_e32 v31, 0xa00, v44
	v_add_u32_e32 v37, 0xc00, v4
	;; [unrolled: 1-line block ×3, first 2 shown]
	v_fmac_f32_e32 v53, 0x3e9e377a, v13
	v_fmac_f32_e32 v56, 0x3e9e377a, v13
	ds_write2_b32 v31, v6, v11 offset0:88 offset1:179
	ds_write2_b32 v37, v12, v17 offset0:142 offset1:233
	;; [unrolled: 1-line block ×3, first 2 shown]
	ds_write_b32 v4, v14 offset:5096
	s_waitcnt lgkmcnt(0)
	s_barrier
	ds_read_b32 v28, v1
	ds_read2_b32 v[8:9], v24 offset0:71 offset1:162
	ds_read2_b32 v[6:7], v25 offset0:51 offset1:142
	;; [unrolled: 1-line block ×7, first 2 shown]
	v_add_f32_e32 v33, v33, v64
	v_add_f32_e32 v33, v33, v66
	;; [unrolled: 1-line block ×3, first 2 shown]
	s_waitcnt lgkmcnt(0)
	s_barrier
	ds_write2_b32 v44, v33, v39 offset1:91
	ds_write2_b32 v29, v42, v43 offset0:54 offset1:145
	ds_write2_b32 v22, v35, v45 offset0:108 offset1:199
	;; [unrolled: 1-line block ×6, first 2 shown]
	ds_write_b32 v4, v34 offset:5096
	s_waitcnt lgkmcnt(0)
	s_barrier
	s_and_saveexec_b64 s[2:3], s[0:1]
	s_cbranch_execz .LBB0_27
; %bb.26:
	v_add_u32_e32 v53, 0x16c, v0
	v_lshlrev_b32_e32 v4, 1, v53
	v_lshlrev_b64 v[22:23], 3, v[4:5]
	v_add_u32_e32 v54, 0x111, v0
	v_lshlrev_b32_e32 v4, 1, v54
	v_mov_b32_e32 v43, s9
	v_add_co_u32_e32 v22, vcc, s8, v22
	v_lshlrev_b64 v[26:27], 3, v[4:5]
	v_addc_co_u32_e32 v23, vcc, v43, v23, vcc
	v_add_co_u32_e32 v26, vcc, s8, v26
	global_load_dwordx4 v[22:25], v[22:23], off offset:3536
	v_addc_co_u32_e32 v27, vcc, v43, v27, vcc
	global_load_dwordx4 v[29:32], v[26:27], off offset:3536
	v_lshlrev_b32_e32 v4, 1, v21
	v_lshlrev_b64 v[26:27], 3, v[4:5]
	v_add_u32_e32 v4, 0xc00, v44
	v_add_co_u32_e32 v26, vcc, s8, v26
	v_addc_co_u32_e32 v27, vcc, v43, v27, vcc
	global_load_dwordx4 v[33:36], v[26:27], off offset:3536
	v_add_u32_e32 v37, 0x1000, v44
	v_add_u32_e32 v38, 0x400, v44
	;; [unrolled: 1-line block ×3, first 2 shown]
	ds_read2_b32 v[26:27], v4 offset0:51 offset1:142
	ds_read2_b32 v[41:42], v37 offset0:159 offset1:250
	ds_read2_b32 v[49:50], v38 offset0:17 offset1:108
	ds_read2_b32 v[51:52], v39 offset0:125 offset1:216
	v_lshlrev_b32_e32 v4, 1, v20
	v_lshlrev_b64 v[37:38], 3, v[4:5]
	v_lshlrev_b32_e32 v4, 1, v0
	v_add_co_u32_e32 v37, vcc, s8, v37
	v_addc_co_u32_e32 v38, vcc, v43, v38, vcc
	global_load_dwordx4 v[37:40], v[37:38], off offset:3536
	v_lshlrev_b64 v[45:46], 3, v[4:5]
	ds_read_b32 v1, v1
	v_add_co_u32_e32 v45, vcc, s8, v45
	v_addc_co_u32_e32 v46, vcc, v43, v46, vcc
	global_load_dwordx4 v[45:48], v[45:46], off offset:3536
	v_add_co_u32_e32 v2, vcc, s12, v2
	s_movk_i32 s0, 0x1000
	s_movk_i32 s1, 0x5b0
	s_movk_i32 s2, 0x888
	s_waitcnt vmcnt(4) lgkmcnt(4)
	v_mul_f32_e32 v4, v26, v23
	s_waitcnt lgkmcnt(3)
	v_mul_f32_e32 v20, v42, v25
	v_mul_f32_e32 v23, v6, v23
	;; [unrolled: 1-line block ×3, first 2 shown]
	v_fma_f32 v4, v6, v22, -v4
	v_fma_f32 v6, v19, v24, -v20
	v_fmac_f32_e32 v23, v22, v26
	s_waitcnt vmcnt(3)
	v_mul_f32_e32 v22, v15, v30
	v_mul_f32_e32 v26, v18, v32
	v_fmac_f32_e32 v25, v24, v42
	s_waitcnt lgkmcnt(1)
	v_mul_f32_e32 v19, v52, v30
	v_mul_f32_e32 v20, v41, v32
	v_sub_f32_e32 v30, v4, v6
	v_add_f32_e32 v32, v4, v6
	v_add_f32_e32 v4, v17, v4
	v_fmac_f32_e32 v22, v29, v52
	v_fmac_f32_e32 v26, v31, v41
	v_add_f32_e32 v24, v23, v25
	v_sub_f32_e32 v42, v23, v25
	v_add_f32_e32 v23, v23, v50
	v_fma_f32 v15, v15, v29, -v19
	v_add_f32_e32 v19, v4, v6
	v_add_f32_e32 v6, v22, v26
	v_fma_f32 v43, v18, v31, -v20
	v_add_f32_e32 v20, v25, v23
	v_fma_f32 v25, -0.5, v6, v49
	v_add_u32_e32 v6, 0xe00, v44
	v_fma_f32 v18, -0.5, v24, v50
	v_fma_f32 v17, -0.5, v32, v17
	v_add_f32_e32 v24, v15, v43
	ds_read2_b32 v[31:32], v6 offset0:105 offset1:196
	v_add_f32_e32 v29, v22, v49
	v_fma_f32 v24, -0.5, v24, v16
	v_sub_f32_e32 v4, v15, v43
	v_sub_f32_e32 v41, v22, v26
	v_add_f32_e32 v15, v16, v15
	v_mov_b32_e32 v22, v17
	v_add_f32_e32 v16, v26, v29
	v_mov_b32_e32 v29, v24
	v_fmac_f32_e32 v17, 0x3f5db3d7, v42
	v_fmac_f32_e32 v22, 0xbf5db3d7, v42
	;; [unrolled: 1-line block ×4, first 2 shown]
	ds_read2_b32 v[41:42], v44 offset0:91 offset1:182
	v_mov_b32_e32 v23, v18
	v_fmac_f32_e32 v18, 0xbf5db3d7, v30
	v_fmac_f32_e32 v23, 0x3f5db3d7, v30
	v_mov_b32_e32 v30, v25
	v_add_f32_e32 v15, v15, v43
	s_waitcnt vmcnt(2) lgkmcnt(1)
	v_mul_f32_e32 v6, v32, v36
	v_mul_f32_e32 v43, v14, v34
	v_mul_f32_e32 v36, v13, v36
	v_fmac_f32_e32 v30, 0x3f5db3d7, v4
	v_fmac_f32_e32 v25, 0xbf5db3d7, v4
	v_mul_f32_e32 v4, v51, v34
	v_fmac_f32_e32 v43, v33, v51
	v_fmac_f32_e32 v36, v35, v32
	v_fma_f32 v4, v14, v33, -v4
	v_fma_f32 v6, v13, v35, -v6
	v_add_f32_e32 v13, v43, v36
	s_waitcnt lgkmcnt(0)
	v_fma_f32 v14, -0.5, v13, v42
	v_add_f32_e32 v13, v4, v6
	v_sub_f32_e32 v26, v4, v6
	v_mov_b32_e32 v33, v14
	v_fma_f32 v13, -0.5, v13, v11
	v_fmac_f32_e32 v33, 0x3f5db3d7, v26
	v_sub_f32_e32 v34, v43, v36
	v_mov_b32_e32 v32, v13
	v_fmac_f32_e32 v14, 0xbf5db3d7, v26
	v_add_u32_e32 v26, 0x600, v44
	v_fmac_f32_e32 v32, 0xbf5db3d7, v34
	v_fmac_f32_e32 v13, 0x3f5db3d7, v34
	ds_read2_b32 v[34:35], v26 offset0:71 offset1:162
	v_add_f32_e32 v4, v11, v4
	v_add_f32_e32 v26, v43, v42
	;; [unrolled: 1-line block ×3, first 2 shown]
	s_waitcnt vmcnt(1)
	v_mul_f32_e32 v6, v31, v40
	s_waitcnt lgkmcnt(0)
	v_mul_f32_e32 v4, v35, v38
	v_fma_f32 v4, v9, v37, -v4
	v_mul_f32_e32 v9, v9, v38
	v_fmac_f32_e32 v9, v37, v35
	v_mul_f32_e32 v37, v12, v40
	v_fmac_f32_e32 v37, v39, v31
	v_fma_f32 v6, v12, v39, -v6
	v_add_f32_e32 v11, v9, v37
	v_fma_f32 v12, -0.5, v11, v41
	v_add_f32_e32 v11, v4, v6
	v_fma_f32 v11, -0.5, v11, v10
	v_sub_f32_e32 v31, v9, v37
	v_mov_b32_e32 v35, v11
	v_add_f32_e32 v43, v36, v26
	v_sub_f32_e32 v26, v4, v6
	v_fmac_f32_e32 v35, 0xbf5db3d7, v31
	v_fmac_f32_e32 v11, 0x3f5db3d7, v31
	v_add_f32_e32 v9, v9, v41
	v_add_f32_e32 v4, v10, v4
	s_waitcnt vmcnt(0)
	v_mul_f32_e32 v31, v8, v46
	v_add_f32_e32 v38, v37, v9
	v_add_f32_e32 v37, v4, v6
	v_mul_f32_e32 v4, v34, v46
	v_fmac_f32_e32 v31, v45, v34
	v_mul_f32_e32 v34, v7, v48
	v_mul_f32_e32 v6, v27, v48
	v_fmac_f32_e32 v34, v47, v27
	v_fma_f32 v4, v8, v45, -v4
	v_fma_f32 v10, v7, v47, -v6
	v_add_f32_e32 v6, v31, v34
	v_fma_f32 v7, -0.5, v6, v1
	v_add_f32_e32 v6, v4, v10
	v_fma_f32 v6, -0.5, v6, v28
	v_mov_b32_e32 v36, v12
	v_sub_f32_e32 v27, v31, v34
	v_mov_b32_e32 v8, v6
	v_add_f32_e32 v1, v31, v1
	v_fmac_f32_e32 v36, 0x3f5db3d7, v26
	v_fmac_f32_e32 v12, 0xbf5db3d7, v26
	v_sub_f32_e32 v26, v4, v10
	v_mov_b32_e32 v9, v7
	v_fmac_f32_e32 v8, 0xbf5db3d7, v27
	v_fmac_f32_e32 v6, 0x3f5db3d7, v27
	v_add_f32_e32 v27, v34, v1
	v_add_f32_e32 v1, v28, v4
	v_fmac_f32_e32 v9, 0x3f5db3d7, v26
	v_fmac_f32_e32 v7, 0xbf5db3d7, v26
	v_add_f32_e32 v26, v1, v10
	v_mov_b32_e32 v1, v5
	v_mov_b32_e32 v4, s13
	v_lshlrev_b64 v[0:1], 3, v[0:1]
	v_addc_co_u32_e32 v3, vcc, v4, v3, vcc
	v_add_co_u32_e32 v0, vcc, v2, v0
	v_addc_co_u32_e32 v1, vcc, v3, v1, vcc
	v_add_co_u32_e32 v2, vcc, s0, v0
	s_mov_b32 s0, 0x20120121
	v_mul_hi_u32 v4, v21, s0
	v_addc_co_u32_e32 v3, vcc, 0, v1, vcc
	global_store_dwordx2 v[0:1], v[26:27], off
	global_store_dwordx2 v[0:1], v[6:7], off offset:3640
	global_store_dwordx2 v[2:3], v[8:9], off offset:3184
	;; [unrolled: 1-line block ×5, first 2 shown]
	v_sub_u32_e32 v2, v21, v4
	v_lshrrev_b32_e32 v2, 1, v2
	v_add_u32_e32 v2, v2, v4
	v_lshrrev_b32_e32 v2, 8, v2
	v_mul_u32_u24_e32 v4, 0x38e, v2
	v_lshlrev_b64 v[2:3], 3, v[4:5]
	v_mul_hi_u32 v4, v54, s0
	v_add_co_u32_e32 v2, vcc, v0, v2
	v_addc_co_u32_e32 v3, vcc, v1, v3, vcc
	v_add_co_u32_e32 v6, vcc, s1, v2
	v_addc_co_u32_e32 v7, vcc, 0, v3, vcc
	s_movk_i32 s1, 0x2000
	global_store_dwordx2 v[2:3], v[42:43], off offset:1456
	global_store_dwordx2 v[6:7], v[13:14], off offset:3640
	v_add_co_u32_e32 v2, vcc, s1, v2
	v_addc_co_u32_e32 v3, vcc, 0, v3, vcc
	global_store_dwordx2 v[2:3], v[32:33], off offset:544
	v_sub_u32_e32 v2, v54, v4
	v_lshrrev_b32_e32 v2, 1, v2
	v_add_u32_e32 v2, v2, v4
	v_lshrrev_b32_e32 v2, 8, v2
	v_mul_u32_u24_e32 v4, 0x38e, v2
	v_lshlrev_b64 v[2:3], 3, v[4:5]
	v_mul_hi_u32 v4, v53, s0
	v_add_co_u32_e32 v2, vcc, v0, v2
	v_addc_co_u32_e32 v3, vcc, v1, v3, vcc
	v_add_co_u32_e32 v6, vcc, s2, v2
	v_addc_co_u32_e32 v7, vcc, 0, v3, vcc
	global_store_dwordx2 v[2:3], v[15:16], off offset:2184
	global_store_dwordx2 v[6:7], v[24:25], off offset:3640
	v_add_co_u32_e32 v2, vcc, s1, v2
	v_addc_co_u32_e32 v3, vcc, 0, v3, vcc
	global_store_dwordx2 v[2:3], v[29:30], off offset:1272
	v_sub_u32_e32 v2, v53, v4
	v_lshrrev_b32_e32 v2, 1, v2
	v_add_u32_e32 v2, v2, v4
	v_lshrrev_b32_e32 v2, 8, v2
	v_mul_u32_u24_e32 v4, 0x38e, v2
	v_lshlrev_b64 v[2:3], 3, v[4:5]
	v_add_co_u32_e32 v0, vcc, v0, v2
	v_addc_co_u32_e32 v1, vcc, v1, v3, vcc
	v_add_co_u32_e32 v2, vcc, 0xb60, v0
	v_addc_co_u32_e32 v3, vcc, 0, v1, vcc
	global_store_dwordx2 v[0:1], v[19:20], off offset:2912
	global_store_dwordx2 v[2:3], v[17:18], off offset:3640
	v_add_co_u32_e32 v0, vcc, 0x2000, v0
	v_addc_co_u32_e32 v1, vcc, 0, v1, vcc
	global_store_dwordx2 v[0:1], v[22:23], off offset:2000
.LBB0_27:
	s_endpgm
	.section	.rodata,"a",@progbits
	.p2align	6, 0x0
	.amdhsa_kernel fft_rtc_fwd_len1365_factors_13_7_5_3_wgs_182_tpt_91_halfLds_sp_ip_CI_unitstride_sbrr_dirReg
		.amdhsa_group_segment_fixed_size 0
		.amdhsa_private_segment_fixed_size 0
		.amdhsa_kernarg_size 88
		.amdhsa_user_sgpr_count 6
		.amdhsa_user_sgpr_private_segment_buffer 1
		.amdhsa_user_sgpr_dispatch_ptr 0
		.amdhsa_user_sgpr_queue_ptr 0
		.amdhsa_user_sgpr_kernarg_segment_ptr 1
		.amdhsa_user_sgpr_dispatch_id 0
		.amdhsa_user_sgpr_flat_scratch_init 0
		.amdhsa_user_sgpr_private_segment_size 0
		.amdhsa_uses_dynamic_stack 0
		.amdhsa_system_sgpr_private_segment_wavefront_offset 0
		.amdhsa_system_sgpr_workgroup_id_x 1
		.amdhsa_system_sgpr_workgroup_id_y 0
		.amdhsa_system_sgpr_workgroup_id_z 0
		.amdhsa_system_sgpr_workgroup_info 0
		.amdhsa_system_vgpr_workitem_id 0
		.amdhsa_next_free_vgpr 123
		.amdhsa_next_free_sgpr 22
		.amdhsa_reserve_vcc 1
		.amdhsa_reserve_flat_scratch 0
		.amdhsa_float_round_mode_32 0
		.amdhsa_float_round_mode_16_64 0
		.amdhsa_float_denorm_mode_32 3
		.amdhsa_float_denorm_mode_16_64 3
		.amdhsa_dx10_clamp 1
		.amdhsa_ieee_mode 1
		.amdhsa_fp16_overflow 0
		.amdhsa_exception_fp_ieee_invalid_op 0
		.amdhsa_exception_fp_denorm_src 0
		.amdhsa_exception_fp_ieee_div_zero 0
		.amdhsa_exception_fp_ieee_overflow 0
		.amdhsa_exception_fp_ieee_underflow 0
		.amdhsa_exception_fp_ieee_inexact 0
		.amdhsa_exception_int_div_zero 0
	.end_amdhsa_kernel
	.text
.Lfunc_end0:
	.size	fft_rtc_fwd_len1365_factors_13_7_5_3_wgs_182_tpt_91_halfLds_sp_ip_CI_unitstride_sbrr_dirReg, .Lfunc_end0-fft_rtc_fwd_len1365_factors_13_7_5_3_wgs_182_tpt_91_halfLds_sp_ip_CI_unitstride_sbrr_dirReg
                                        ; -- End function
	.section	.AMDGPU.csdata,"",@progbits
; Kernel info:
; codeLenInByte = 13464
; NumSgprs: 26
; NumVgprs: 123
; ScratchSize: 0
; MemoryBound: 0
; FloatMode: 240
; IeeeMode: 1
; LDSByteSize: 0 bytes/workgroup (compile time only)
; SGPRBlocks: 3
; VGPRBlocks: 30
; NumSGPRsForWavesPerEU: 26
; NumVGPRsForWavesPerEU: 123
; Occupancy: 2
; WaveLimiterHint : 1
; COMPUTE_PGM_RSRC2:SCRATCH_EN: 0
; COMPUTE_PGM_RSRC2:USER_SGPR: 6
; COMPUTE_PGM_RSRC2:TRAP_HANDLER: 0
; COMPUTE_PGM_RSRC2:TGID_X_EN: 1
; COMPUTE_PGM_RSRC2:TGID_Y_EN: 0
; COMPUTE_PGM_RSRC2:TGID_Z_EN: 0
; COMPUTE_PGM_RSRC2:TIDIG_COMP_CNT: 0
	.type	__hip_cuid_efeadc2c7d73e797,@object ; @__hip_cuid_efeadc2c7d73e797
	.section	.bss,"aw",@nobits
	.globl	__hip_cuid_efeadc2c7d73e797
__hip_cuid_efeadc2c7d73e797:
	.byte	0                               ; 0x0
	.size	__hip_cuid_efeadc2c7d73e797, 1

	.ident	"AMD clang version 19.0.0git (https://github.com/RadeonOpenCompute/llvm-project roc-6.4.0 25133 c7fe45cf4b819c5991fe208aaa96edf142730f1d)"
	.section	".note.GNU-stack","",@progbits
	.addrsig
	.addrsig_sym __hip_cuid_efeadc2c7d73e797
	.amdgpu_metadata
---
amdhsa.kernels:
  - .args:
      - .actual_access:  read_only
        .address_space:  global
        .offset:         0
        .size:           8
        .value_kind:     global_buffer
      - .offset:         8
        .size:           8
        .value_kind:     by_value
      - .actual_access:  read_only
        .address_space:  global
        .offset:         16
        .size:           8
        .value_kind:     global_buffer
      - .actual_access:  read_only
        .address_space:  global
        .offset:         24
        .size:           8
        .value_kind:     global_buffer
      - .offset:         32
        .size:           8
        .value_kind:     by_value
      - .actual_access:  read_only
        .address_space:  global
        .offset:         40
        .size:           8
        .value_kind:     global_buffer
      - .actual_access:  read_only
        .address_space:  global
        .offset:         48
        .size:           8
        .value_kind:     global_buffer
      - .offset:         56
        .size:           4
        .value_kind:     by_value
      - .actual_access:  read_only
        .address_space:  global
        .offset:         64
        .size:           8
        .value_kind:     global_buffer
      - .actual_access:  read_only
        .address_space:  global
        .offset:         72
        .size:           8
        .value_kind:     global_buffer
      - .address_space:  global
        .offset:         80
        .size:           8
        .value_kind:     global_buffer
    .group_segment_fixed_size: 0
    .kernarg_segment_align: 8
    .kernarg_segment_size: 88
    .language:       OpenCL C
    .language_version:
      - 2
      - 0
    .max_flat_workgroup_size: 182
    .name:           fft_rtc_fwd_len1365_factors_13_7_5_3_wgs_182_tpt_91_halfLds_sp_ip_CI_unitstride_sbrr_dirReg
    .private_segment_fixed_size: 0
    .sgpr_count:     26
    .sgpr_spill_count: 0
    .symbol:         fft_rtc_fwd_len1365_factors_13_7_5_3_wgs_182_tpt_91_halfLds_sp_ip_CI_unitstride_sbrr_dirReg.kd
    .uniform_work_group_size: 1
    .uses_dynamic_stack: false
    .vgpr_count:     123
    .vgpr_spill_count: 0
    .wavefront_size: 64
amdhsa.target:   amdgcn-amd-amdhsa--gfx906
amdhsa.version:
  - 1
  - 2
...

	.end_amdgpu_metadata
